;; amdgpu-corpus repo=ROCm/rocFFT kind=compiled arch=gfx906 opt=O3
	.text
	.amdgcn_target "amdgcn-amd-amdhsa--gfx906"
	.amdhsa_code_object_version 6
	.protected	fft_rtc_back_len3456_factors_6_6_6_4_4_wgs_144_tpt_144_halfLds_sp_ip_CI_unitstride_sbrr_dirReg ; -- Begin function fft_rtc_back_len3456_factors_6_6_6_4_4_wgs_144_tpt_144_halfLds_sp_ip_CI_unitstride_sbrr_dirReg
	.globl	fft_rtc_back_len3456_factors_6_6_6_4_4_wgs_144_tpt_144_halfLds_sp_ip_CI_unitstride_sbrr_dirReg
	.p2align	8
	.type	fft_rtc_back_len3456_factors_6_6_6_4_4_wgs_144_tpt_144_halfLds_sp_ip_CI_unitstride_sbrr_dirReg,@function
fft_rtc_back_len3456_factors_6_6_6_4_4_wgs_144_tpt_144_halfLds_sp_ip_CI_unitstride_sbrr_dirReg: ; @fft_rtc_back_len3456_factors_6_6_6_4_4_wgs_144_tpt_144_halfLds_sp_ip_CI_unitstride_sbrr_dirReg
; %bb.0:
	s_load_dwordx2 s[2:3], s[4:5], 0x50
	s_load_dwordx4 s[8:11], s[4:5], 0x0
	s_load_dwordx2 s[12:13], s[4:5], 0x18
	v_mul_u32_u24_e32 v1, 0x1c8, v0
	v_add_u32_sdwa v5, s6, v1 dst_sel:DWORD dst_unused:UNUSED_PAD src0_sel:DWORD src1_sel:WORD_1
	v_mov_b32_e32 v3, 0
	s_waitcnt lgkmcnt(0)
	v_cmp_lt_u64_e64 s[0:1], s[10:11], 2
	v_mov_b32_e32 v1, 0
	v_mov_b32_e32 v6, v3
	s_and_b64 vcc, exec, s[0:1]
	v_mov_b32_e32 v2, 0
	s_cbranch_vccnz .LBB0_8
; %bb.1:
	s_load_dwordx2 s[0:1], s[4:5], 0x10
	s_add_u32 s6, s12, 8
	s_addc_u32 s7, s13, 0
	v_mov_b32_e32 v1, 0
	v_mov_b32_e32 v2, 0
	s_waitcnt lgkmcnt(0)
	s_add_u32 s14, s0, 8
	s_addc_u32 s15, s1, 0
	s_mov_b64 s[16:17], 1
.LBB0_2:                                ; =>This Inner Loop Header: Depth=1
	s_load_dwordx2 s[18:19], s[14:15], 0x0
                                        ; implicit-def: $vgpr7_vgpr8
	s_waitcnt lgkmcnt(0)
	v_or_b32_e32 v4, s19, v6
	v_cmp_ne_u64_e32 vcc, 0, v[3:4]
	s_and_saveexec_b64 s[0:1], vcc
	s_xor_b64 s[20:21], exec, s[0:1]
	s_cbranch_execz .LBB0_4
; %bb.3:                                ;   in Loop: Header=BB0_2 Depth=1
	v_cvt_f32_u32_e32 v4, s18
	v_cvt_f32_u32_e32 v7, s19
	s_sub_u32 s0, 0, s18
	s_subb_u32 s1, 0, s19
	v_mac_f32_e32 v4, 0x4f800000, v7
	v_rcp_f32_e32 v4, v4
	v_mul_f32_e32 v4, 0x5f7ffffc, v4
	v_mul_f32_e32 v7, 0x2f800000, v4
	v_trunc_f32_e32 v7, v7
	v_mac_f32_e32 v4, 0xcf800000, v7
	v_cvt_u32_f32_e32 v7, v7
	v_cvt_u32_f32_e32 v4, v4
	v_mul_lo_u32 v8, s0, v7
	v_mul_hi_u32 v9, s0, v4
	v_mul_lo_u32 v11, s1, v4
	v_mul_lo_u32 v10, s0, v4
	v_add_u32_e32 v8, v9, v8
	v_add_u32_e32 v8, v8, v11
	v_mul_hi_u32 v9, v4, v10
	v_mul_lo_u32 v11, v4, v8
	v_mul_hi_u32 v13, v4, v8
	v_mul_hi_u32 v12, v7, v10
	v_mul_lo_u32 v10, v7, v10
	v_mul_hi_u32 v14, v7, v8
	v_add_co_u32_e32 v9, vcc, v9, v11
	v_addc_co_u32_e32 v11, vcc, 0, v13, vcc
	v_mul_lo_u32 v8, v7, v8
	v_add_co_u32_e32 v9, vcc, v9, v10
	v_addc_co_u32_e32 v9, vcc, v11, v12, vcc
	v_addc_co_u32_e32 v10, vcc, 0, v14, vcc
	v_add_co_u32_e32 v8, vcc, v9, v8
	v_addc_co_u32_e32 v9, vcc, 0, v10, vcc
	v_add_co_u32_e32 v4, vcc, v4, v8
	v_addc_co_u32_e32 v7, vcc, v7, v9, vcc
	v_mul_lo_u32 v8, s0, v7
	v_mul_hi_u32 v9, s0, v4
	v_mul_lo_u32 v10, s1, v4
	v_mul_lo_u32 v11, s0, v4
	v_add_u32_e32 v8, v9, v8
	v_add_u32_e32 v8, v8, v10
	v_mul_lo_u32 v12, v4, v8
	v_mul_hi_u32 v13, v4, v11
	v_mul_hi_u32 v14, v4, v8
	;; [unrolled: 1-line block ×3, first 2 shown]
	v_mul_lo_u32 v11, v7, v11
	v_mul_hi_u32 v9, v7, v8
	v_add_co_u32_e32 v12, vcc, v13, v12
	v_addc_co_u32_e32 v13, vcc, 0, v14, vcc
	v_mul_lo_u32 v8, v7, v8
	v_add_co_u32_e32 v11, vcc, v12, v11
	v_addc_co_u32_e32 v10, vcc, v13, v10, vcc
	v_addc_co_u32_e32 v9, vcc, 0, v9, vcc
	v_add_co_u32_e32 v8, vcc, v10, v8
	v_addc_co_u32_e32 v9, vcc, 0, v9, vcc
	v_add_co_u32_e32 v4, vcc, v4, v8
	v_addc_co_u32_e32 v9, vcc, v7, v9, vcc
	v_mad_u64_u32 v[7:8], s[0:1], v5, v9, 0
	v_mul_hi_u32 v10, v5, v4
	v_add_co_u32_e32 v11, vcc, v10, v7
	v_addc_co_u32_e32 v12, vcc, 0, v8, vcc
	v_mad_u64_u32 v[7:8], s[0:1], v6, v4, 0
	v_mad_u64_u32 v[9:10], s[0:1], v6, v9, 0
	v_add_co_u32_e32 v4, vcc, v11, v7
	v_addc_co_u32_e32 v4, vcc, v12, v8, vcc
	v_addc_co_u32_e32 v7, vcc, 0, v10, vcc
	v_add_co_u32_e32 v4, vcc, v4, v9
	v_addc_co_u32_e32 v9, vcc, 0, v7, vcc
	v_mul_lo_u32 v10, s19, v4
	v_mul_lo_u32 v11, s18, v9
	v_mad_u64_u32 v[7:8], s[0:1], s18, v4, 0
	v_add3_u32 v8, v8, v11, v10
	v_sub_u32_e32 v10, v6, v8
	v_mov_b32_e32 v11, s19
	v_sub_co_u32_e32 v7, vcc, v5, v7
	v_subb_co_u32_e64 v10, s[0:1], v10, v11, vcc
	v_subrev_co_u32_e64 v11, s[0:1], s18, v7
	v_subbrev_co_u32_e64 v10, s[0:1], 0, v10, s[0:1]
	v_cmp_le_u32_e64 s[0:1], s19, v10
	v_cndmask_b32_e64 v12, 0, -1, s[0:1]
	v_cmp_le_u32_e64 s[0:1], s18, v11
	v_cndmask_b32_e64 v11, 0, -1, s[0:1]
	v_cmp_eq_u32_e64 s[0:1], s19, v10
	v_cndmask_b32_e64 v10, v12, v11, s[0:1]
	v_add_co_u32_e64 v11, s[0:1], 2, v4
	v_addc_co_u32_e64 v12, s[0:1], 0, v9, s[0:1]
	v_add_co_u32_e64 v13, s[0:1], 1, v4
	v_addc_co_u32_e64 v14, s[0:1], 0, v9, s[0:1]
	v_subb_co_u32_e32 v8, vcc, v6, v8, vcc
	v_cmp_ne_u32_e64 s[0:1], 0, v10
	v_cmp_le_u32_e32 vcc, s19, v8
	v_cndmask_b32_e64 v10, v14, v12, s[0:1]
	v_cndmask_b32_e64 v12, 0, -1, vcc
	v_cmp_le_u32_e32 vcc, s18, v7
	v_cndmask_b32_e64 v7, 0, -1, vcc
	v_cmp_eq_u32_e32 vcc, s19, v8
	v_cndmask_b32_e32 v7, v12, v7, vcc
	v_cmp_ne_u32_e32 vcc, 0, v7
	v_cndmask_b32_e64 v7, v13, v11, s[0:1]
	v_cndmask_b32_e32 v8, v9, v10, vcc
	v_cndmask_b32_e32 v7, v4, v7, vcc
.LBB0_4:                                ;   in Loop: Header=BB0_2 Depth=1
	s_andn2_saveexec_b64 s[0:1], s[20:21]
	s_cbranch_execz .LBB0_6
; %bb.5:                                ;   in Loop: Header=BB0_2 Depth=1
	v_cvt_f32_u32_e32 v4, s18
	s_sub_i32 s20, 0, s18
	v_rcp_iflag_f32_e32 v4, v4
	v_mul_f32_e32 v4, 0x4f7ffffe, v4
	v_cvt_u32_f32_e32 v4, v4
	v_mul_lo_u32 v7, s20, v4
	v_mul_hi_u32 v7, v4, v7
	v_add_u32_e32 v4, v4, v7
	v_mul_hi_u32 v4, v5, v4
	v_mul_lo_u32 v7, v4, s18
	v_add_u32_e32 v8, 1, v4
	v_sub_u32_e32 v7, v5, v7
	v_subrev_u32_e32 v9, s18, v7
	v_cmp_le_u32_e32 vcc, s18, v7
	v_cndmask_b32_e32 v7, v7, v9, vcc
	v_cndmask_b32_e32 v4, v4, v8, vcc
	v_add_u32_e32 v8, 1, v4
	v_cmp_le_u32_e32 vcc, s18, v7
	v_cndmask_b32_e32 v7, v4, v8, vcc
	v_mov_b32_e32 v8, v3
.LBB0_6:                                ;   in Loop: Header=BB0_2 Depth=1
	s_or_b64 exec, exec, s[0:1]
	v_mul_lo_u32 v4, v8, s18
	v_mul_lo_u32 v11, v7, s19
	v_mad_u64_u32 v[9:10], s[0:1], v7, s18, 0
	s_load_dwordx2 s[0:1], s[6:7], 0x0
	s_add_u32 s16, s16, 1
	v_add3_u32 v4, v10, v11, v4
	v_sub_co_u32_e32 v5, vcc, v5, v9
	v_subb_co_u32_e32 v4, vcc, v6, v4, vcc
	s_waitcnt lgkmcnt(0)
	v_mul_lo_u32 v4, s0, v4
	v_mul_lo_u32 v6, s1, v5
	v_mad_u64_u32 v[1:2], s[0:1], s0, v5, v[1:2]
	s_addc_u32 s17, s17, 0
	s_add_u32 s6, s6, 8
	v_add3_u32 v2, v6, v2, v4
	v_mov_b32_e32 v4, s10
	v_mov_b32_e32 v5, s11
	s_addc_u32 s7, s7, 0
	v_cmp_ge_u64_e32 vcc, s[16:17], v[4:5]
	s_add_u32 s14, s14, 8
	s_addc_u32 s15, s15, 0
	s_cbranch_vccnz .LBB0_9
; %bb.7:                                ;   in Loop: Header=BB0_2 Depth=1
	v_mov_b32_e32 v5, v7
	v_mov_b32_e32 v6, v8
	s_branch .LBB0_2
.LBB0_8:
	v_mov_b32_e32 v8, v6
	v_mov_b32_e32 v7, v5
.LBB0_9:
	s_lshl_b64 s[0:1], s[10:11], 3
	s_add_u32 s0, s12, s0
	s_addc_u32 s1, s13, s1
	s_load_dwordx2 s[6:7], s[0:1], 0x0
	s_load_dwordx2 s[10:11], s[4:5], 0x20
                                        ; implicit-def: $vgpr12
                                        ; implicit-def: $vgpr45
                                        ; implicit-def: $vgpr47
                                        ; implicit-def: $vgpr49
                                        ; implicit-def: $vgpr51
                                        ; implicit-def: $vgpr10
                                        ; implicit-def: $vgpr22
                                        ; implicit-def: $vgpr43
                                        ; implicit-def: $vgpr34
                                        ; implicit-def: $vgpr14
                                        ; implicit-def: $vgpr20
                                        ; implicit-def: $vgpr30
                                        ; implicit-def: $vgpr28
                                        ; implicit-def: $vgpr6
                                        ; implicit-def: $vgpr18
                                        ; implicit-def: $vgpr39
                                        ; implicit-def: $vgpr26
                                        ; implicit-def: $vgpr24
                                        ; implicit-def: $vgpr16
                                        ; implicit-def: $vgpr41
                                        ; implicit-def: $vgpr37
                                        ; implicit-def: $vgpr32
                                        ; implicit-def: $vgpr53
	s_waitcnt lgkmcnt(0)
	v_mad_u64_u32 v[1:2], s[0:1], s6, v7, v[1:2]
	v_mul_lo_u32 v3, s6, v8
	v_mul_lo_u32 v4, s7, v7
	s_mov_b32 s0, 0x1c71c72
	v_mul_hi_u32 v5, v0, s0
	v_cmp_gt_u64_e64 s[0:1], s[10:11], v[7:8]
	v_add3_u32 v2, v4, v2, v3
	v_lshlrev_b64 v[2:3], 3, v[1:2]
	v_mul_u32_u24_e32 v4, 0x90, v5
	v_sub_u32_e32 v0, v0, v4
                                        ; implicit-def: $vgpr8
	s_and_saveexec_b64 s[4:5], s[0:1]
	s_cbranch_execz .LBB0_11
; %bb.10:
	v_mov_b32_e32 v1, 0
	v_mov_b32_e32 v4, s3
	v_add_co_u32_e32 v6, vcc, s2, v2
	v_addc_co_u32_e32 v7, vcc, v4, v3, vcc
	v_lshlrev_b64 v[4:5], 3, v[0:1]
	s_movk_i32 s6, 0x5000
	v_add_co_u32_e32 v17, vcc, v6, v4
	v_addc_co_u32_e32 v18, vcc, v7, v5, vcc
	v_add_co_u32_e32 v23, vcc, 0x1000, v17
	v_addc_co_u32_e32 v24, vcc, 0, v18, vcc
	;; [unrolled: 2-line block ×3, first 2 shown]
	v_or_b32_e32 v4, 0x900, v0
	v_mov_b32_e32 v5, v1
	v_add_co_u32_e32 v54, vcc, 0x3000, v17
	v_lshlrev_b64 v[4:5], 3, v[4:5]
	v_addc_co_u32_e32 v55, vcc, 0, v18, vcc
	v_add_co_u32_e32 v27, vcc, v6, v4
	v_addc_co_u32_e32 v28, vcc, v7, v5, vcc
	v_add_co_u32_e32 v56, vcc, s6, v17
	v_addc_co_u32_e32 v57, vcc, 0, v18, vcc
	s_movk_i32 s6, 0x4000
	v_add_co_u32_e32 v58, vcc, s6, v17
	v_addc_co_u32_e32 v59, vcc, 0, v18, vcc
	s_movk_i32 s6, 0x6000
	v_add_co_u32_e32 v60, vcc, s6, v17
	v_addc_co_u32_e32 v61, vcc, 0, v18, vcc
	global_load_dwordx2 v[11:12], v[17:18], off
	global_load_dwordx2 v[9:10], v[17:18], off offset:1152
	global_load_dwordx2 v[7:8], v[17:18], off offset:2304
	;; [unrolled: 1-line block ×9, first 2 shown]
	global_load_dwordx2 v[48:49], v[27:28], off
	global_load_dwordx2 v[40:41], v[54:55], off offset:3840
	global_load_dwordx2 v[46:47], v[25:26], off offset:1024
	;; [unrolled: 1-line block ×4, first 2 shown]
                                        ; kill: killed $vgpr27 killed $vgpr28
                                        ; kill: killed $vgpr23 killed $vgpr24
                                        ; kill: killed $vgpr17 killed $vgpr18
                                        ; kill: killed $vgpr25 killed $vgpr26
	global_load_dwordx2 v[17:18], v[54:55], off offset:384
	global_load_dwordx2 v[23:24], v[60:61], off offset:1920
	;; [unrolled: 1-line block ×9, first 2 shown]
.LBB0_11:
	s_or_b64 exec, exec, s[4:5]
	s_waitcnt vmcnt(11)
	v_add_f32_e32 v4, v46, v48
	v_add_f32_e32 v1, v11, v46
	v_fmac_f32_e32 v11, -0.5, v4
	v_sub_f32_e32 v4, v47, v49
	v_mov_b32_e32 v35, v11
	v_fmac_f32_e32 v35, 0xbf5db3d7, v4
	v_fmac_f32_e32 v11, 0x3f5db3d7, v4
	v_add_f32_e32 v4, v12, v47
	v_add_f32_e32 v47, v47, v49
	v_fmac_f32_e32 v12, -0.5, v47
	v_sub_f32_e32 v46, v46, v48
	v_mov_b32_e32 v54, v12
	v_fmac_f32_e32 v54, 0x3f5db3d7, v46
	v_fmac_f32_e32 v12, 0xbf5db3d7, v46
	v_add_f32_e32 v46, v44, v52
	v_add_f32_e32 v4, v4, v49
	s_waitcnt vmcnt(1)
	v_add_f32_e32 v49, v50, v46
	v_add_f32_e32 v46, v50, v52
	v_fmac_f32_e32 v44, -0.5, v46
	v_sub_f32_e32 v46, v53, v51
	v_mov_b32_e32 v55, v44
	v_fmac_f32_e32 v55, 0xbf5db3d7, v46
	v_fmac_f32_e32 v44, 0x3f5db3d7, v46
	v_add_f32_e32 v46, v45, v53
	v_add_f32_e32 v56, v51, v46
	;; [unrolled: 1-line block ×3, first 2 shown]
	v_fmac_f32_e32 v45, -0.5, v46
	v_sub_f32_e32 v46, v52, v50
	v_mov_b32_e32 v50, v45
	v_fmac_f32_e32 v45, 0xbf5db3d7, v46
	v_mul_f32_e32 v52, 0xbf5db3d7, v45
	v_fmac_f32_e32 v50, 0x3f5db3d7, v46
	v_fmac_f32_e32 v52, -0.5, v44
	v_add_f32_e32 v1, v1, v48
	v_mul_f32_e32 v51, 0xbf5db3d7, v50
	v_add_f32_e32 v48, v11, v52
	v_mul_f32_e32 v57, -0.5, v45
	v_sub_f32_e32 v45, v11, v52
	v_add_f32_e32 v11, v21, v33
	v_add_f32_e32 v46, v1, v49
	v_fmac_f32_e32 v51, 0.5, v55
	v_mul_f32_e32 v55, 0x3f5db3d7, v55
	v_sub_f32_e32 v49, v1, v49
	v_add_f32_e32 v1, v9, v21
	v_fmac_f32_e32 v9, -0.5, v11
	v_add_f32_e32 v47, v35, v51
	v_fmac_f32_e32 v55, 0.5, v50
	v_fmac_f32_e32 v57, 0x3f5db3d7, v44
	v_sub_f32_e32 v44, v35, v51
	v_sub_f32_e32 v11, v22, v34
	v_mov_b32_e32 v50, v9
	v_add_f32_e32 v35, v42, v36
	v_fmac_f32_e32 v50, 0xbf5db3d7, v11
	v_fmac_f32_e32 v9, 0x3f5db3d7, v11
	v_add_f32_e32 v11, v42, v31
	v_fmac_f32_e32 v31, -0.5, v35
	v_sub_f32_e32 v35, v43, v37
	v_mov_b32_e32 v58, v31
	v_fmac_f32_e32 v58, 0xbf5db3d7, v35
	v_fmac_f32_e32 v31, 0x3f5db3d7, v35
	v_add_f32_e32 v35, v43, v37
	v_add_f32_e32 v59, v43, v32
	v_fmac_f32_e32 v32, -0.5, v35
	v_sub_f32_e32 v35, v42, v36
	v_mov_b32_e32 v60, v32
	v_fmac_f32_e32 v60, 0x3f5db3d7, v35
	v_fmac_f32_e32 v32, 0xbf5db3d7, v35
	v_mul_f32_e32 v51, 0xbf5db3d7, v60
	v_mul_f32_e32 v52, 0xbf5db3d7, v32
	v_fmac_f32_e32 v51, 0.5, v58
	v_fmac_f32_e32 v52, -0.5, v31
	v_add_f32_e32 v1, v1, v33
	v_add_f32_e32 v11, v36, v11
	;; [unrolled: 1-line block ×4, first 2 shown]
	v_sub_f32_e32 v50, v50, v51
	v_sub_f32_e32 v51, v9, v52
	v_add_f32_e32 v9, v19, v29
	v_add_f32_e32 v35, v1, v11
	v_sub_f32_e32 v43, v1, v11
	v_add_f32_e32 v1, v7, v19
	v_fmac_f32_e32 v7, -0.5, v9
	v_mul_u32_u24_e32 v9, 6, v0
	v_lshl_add_u32 v61, v9, 2, 0
	ds_write2_b64 v61, v[46:47], v[48:49] offset1:1
	v_sub_f32_e32 v9, v20, v30
	v_mov_b32_e32 v11, v7
	v_add_f32_e32 v46, v27, v40
	v_fmac_f32_e32 v11, 0xbf5db3d7, v9
	v_fmac_f32_e32 v7, 0x3f5db3d7, v9
	v_add_f32_e32 v9, v13, v40
	v_fmac_f32_e32 v13, -0.5, v46
	v_sub_f32_e32 v46, v41, v28
	v_add_f32_e32 v63, v14, v41
	v_add_f32_e32 v41, v28, v41
	v_fmac_f32_e32 v14, -0.5, v41
	v_add_f32_e32 v9, v27, v9
	v_sub_f32_e32 v27, v40, v27
	v_mov_b32_e32 v64, v14
	v_fmac_f32_e32 v64, 0x3f5db3d7, v27
	v_fmac_f32_e32 v14, 0xbf5db3d7, v27
	v_add_u32_e32 v27, 0xd80, v61
	v_mov_b32_e32 v62, v13
	v_fmac_f32_e32 v13, 0x3f5db3d7, v46
	ds_write2_b64 v27, v[35:36], v[42:43] offset1:1
	v_mul_f32_e32 v43, 0xbf5db3d7, v14
	v_fmac_f32_e32 v43, -0.5, v13
	v_fmac_f32_e32 v62, 0xbf5db3d7, v46
	v_add_f32_e32 v1, v1, v29
	v_mul_f32_e32 v42, 0xbf5db3d7, v64
	v_add_f32_e32 v40, v7, v43
	v_sub_f32_e32 v43, v7, v43
	s_waitcnt vmcnt(0)
	v_add_f32_e32 v7, v17, v25
	v_add_f32_e32 v35, v1, v9
	v_fmac_f32_e32 v42, 0.5, v62
	v_sub_f32_e32 v41, v1, v9
	v_add_f32_e32 v1, v5, v17
	v_fmac_f32_e32 v5, -0.5, v7
	v_add_f32_e32 v36, v11, v42
	v_sub_f32_e32 v42, v11, v42
	v_sub_f32_e32 v7, v18, v26
	v_mov_b32_e32 v9, v5
	v_add_f32_e32 v11, v38, v23
	v_fmac_f32_e32 v9, 0xbf5db3d7, v7
	v_fmac_f32_e32 v5, 0x3f5db3d7, v7
	v_add_f32_e32 v7, v38, v15
	v_fmac_f32_e32 v15, -0.5, v11
	v_sub_f32_e32 v11, v39, v24
	v_mov_b32_e32 v66, v15
	v_fmac_f32_e32 v66, 0xbf5db3d7, v11
	v_fmac_f32_e32 v15, 0x3f5db3d7, v11
	v_add_f32_e32 v11, v39, v24
	v_add_f32_e32 v67, v39, v16
	v_fmac_f32_e32 v16, -0.5, v11
	v_sub_f32_e32 v11, v38, v23
	v_mov_b32_e32 v68, v16
	v_fmac_f32_e32 v68, 0x3f5db3d7, v11
	v_add_f32_e32 v48, v4, v56
	v_sub_f32_e32 v53, v4, v56
	v_add_f32_e32 v4, v23, v7
	v_mul_f32_e32 v7, 0xbf5db3d7, v68
	v_add_u32_e32 v65, 0x1b00, v61
	v_add_f32_e32 v1, v1, v25
	v_fmac_f32_e32 v7, 0.5, v66
	ds_write2_b64 v65, v[35:36], v[40:41] offset1:1
	v_add_f32_e32 v35, v1, v4
	v_add_f32_e32 v36, v9, v7
	v_sub_f32_e32 v39, v1, v4
	v_sub_f32_e32 v4, v9, v7
	v_add_f32_e32 v7, v10, v22
	v_add_f32_e32 v22, v22, v34
	v_sub_f32_e32 v21, v21, v33
	v_mul_f32_e32 v32, -0.5, v32
	v_fmac_f32_e32 v10, -0.5, v22
	v_fmac_f32_e32 v32, 0x3f5db3d7, v31
	v_mov_b32_e32 v31, v10
	v_fmac_f32_e32 v10, 0xbf5db3d7, v21
	v_add_f32_e32 v7, v7, v34
	v_add_f32_e32 v23, v37, v59
	v_fmac_f32_e32 v31, 0x3f5db3d7, v21
	v_add_f32_e32 v21, v10, v32
	v_sub_f32_e32 v32, v10, v32
	v_add_f32_e32 v10, v20, v30
	v_sub_f32_e32 v22, v7, v23
	v_add_f32_e32 v33, v7, v23
	v_add_f32_e32 v7, v8, v20
	v_mul_f32_e32 v14, -0.5, v14
	v_fmac_f32_e32 v8, -0.5, v10
	v_sub_f32_e32 v19, v19, v29
	v_fmac_f32_e32 v14, 0x3f5db3d7, v13
	v_mov_b32_e32 v10, v8
	v_mul_f32_e32 v13, 0x3f5db3d7, v62
	v_add_f32_e32 v20, v7, v30
	v_add_f32_e32 v23, v28, v63
	v_fmac_f32_e32 v10, 0x3f5db3d7, v19
	v_fmac_f32_e32 v8, 0xbf5db3d7, v19
	v_fmac_f32_e32 v13, 0.5, v64
	v_fmac_f32_e32 v16, 0xbf5db3d7, v11
	v_add_f32_e32 v7, v8, v14
	v_sub_f32_e32 v14, v8, v14
	v_sub_f32_e32 v8, v20, v23
	v_add_f32_e32 v19, v20, v23
	v_add_f32_e32 v20, v10, v13
	v_sub_f32_e32 v13, v10, v13
	v_add_f32_e32 v10, v6, v18
	v_add_f32_e32 v18, v18, v26
	v_mul_f32_e32 v11, 0xbf5db3d7, v16
	s_movk_i32 s4, 0xffec
	v_sub_f32_e32 v17, v17, v25
	v_mul_f32_e32 v16, -0.5, v16
	v_fmac_f32_e32 v6, -0.5, v18
	v_mad_i32_i24 v1, v0, s4, v61
	v_fmac_f32_e32 v16, 0x3f5db3d7, v15
	v_mov_b32_e32 v25, v6
	v_fmac_f32_e32 v6, 0xbf5db3d7, v17
	s_movk_i32 s4, 0xab
	v_fmac_f32_e32 v11, -0.5, v15
	v_mul_f32_e32 v37, 0x3f5db3d7, v58
	v_fmac_f32_e32 v25, 0x3f5db3d7, v17
	v_mul_f32_e32 v17, 0x3f5db3d7, v66
	v_add_f32_e32 v15, v6, v16
	v_sub_f32_e32 v18, v6, v16
	v_mul_lo_u16_sdwa v6, v0, s4 dst_sel:DWORD dst_unused:UNUSED_PAD src0_sel:BYTE_0 src1_sel:DWORD
	v_add_f32_e32 v49, v54, v55
	v_add_f32_e32 v52, v12, v57
	ds_write_b64 v61, v[50:51] offset:3472
	v_add_f32_e32 v38, v5, v11
	v_sub_f32_e32 v5, v5, v11
	v_add_u32_e32 v50, 0x2880, v61
	v_sub_f32_e32 v12, v12, v57
	v_sub_f32_e32 v11, v54, v55
	v_fmac_f32_e32 v37, 0.5, v60
	v_add_f32_e32 v10, v10, v26
	v_add_f32_e32 v23, v24, v67
	v_fmac_f32_e32 v17, 0.5, v68
	v_lshrrev_b16_e32 v6, 10, v6
	ds_write_b64 v61, v[44:45] offset:16
	ds_write_b64 v61, v[42:43] offset:6928
	ds_write2_b64 v50, v[35:36], v[38:39] offset1:1
	ds_write_b64 v61, v[4:5] offset:10384
	s_waitcnt lgkmcnt(0)
	s_barrier
	v_add_u32_e32 v9, 0x800, v1
	v_add_u32_e32 v41, 0x1200, v1
	;; [unrolled: 1-line block ×11, first 2 shown]
	ds_read2_b32 v[35:36], v1 offset1:144
	ds_read2_b32 v[72:73], v9 offset0:64 offset1:208
	ds_read2_b32 v[74:75], v41 offset1:144
	ds_read2_b32 v[76:77], v38 offset0:64 offset1:208
	;; [unrolled: 2-line block ×3, first 2 shown]
	ds_read2_b32 v[4:5], v43 offset0:32 offset1:176
	ds_read2_b32 v[82:83], v39 offset0:96 offset1:240
	;; [unrolled: 1-line block ×6, first 2 shown]
	s_waitcnt lgkmcnt(0)
	s_barrier
	ds_write2_b64 v61, v[48:49], v[52:53] offset1:1
	v_add_f32_e32 v34, v31, v37
	v_sub_f32_e32 v31, v31, v37
	v_sub_f32_e32 v16, v10, v23
	v_add_f32_e32 v23, v10, v23
	v_add_f32_e32 v24, v25, v17
	v_sub_f32_e32 v17, v25, v17
	ds_write_b64 v61, v[11:12] offset:16
	ds_write2_b64 v27, v[33:34], v[21:22] offset1:1
	ds_write_b64 v61, v[31:32] offset:3472
	ds_write2_b64 v65, v[19:20], v[7:8] offset1:1
	;; [unrolled: 2-line block ×3, first 2 shown]
	ds_write_b64 v61, v[17:18] offset:10384
	v_mul_lo_u16_e32 v7, 6, v6
	v_sub_u16_e32 v7, v0, v7
	v_mov_b32_e32 v11, 5
	v_add_u32_e32 v10, 0x90, v0
	s_mov_b32 s4, 0xaaab
	v_mul_u32_u24_sdwa v8, v7, v11 dst_sel:DWORD dst_unused:UNUSED_PAD src0_sel:BYTE_0 src1_sel:DWORD
	v_mul_u32_u24_sdwa v12, v10, s4 dst_sel:DWORD dst_unused:UNUSED_PAD src0_sel:WORD_0 src1_sel:DWORD
	v_lshlrev_b32_e32 v8, 3, v8
	v_lshrrev_b32_e32 v12, 18, v12
	s_waitcnt lgkmcnt(0)
	s_barrier
	global_load_dwordx4 v[22:25], v8, s[8:9]
	v_mul_lo_u16_e32 v13, 6, v12
	v_sub_u16_e32 v13, v10, v13
	v_mul_u32_u24_e32 v14, 5, v13
	v_lshlrev_b32_e32 v18, 3, v14
	global_load_dwordx4 v[26:29], v18, s[8:9]
	global_load_dwordx4 v[48:51], v8, s[8:9] offset:16
	global_load_dwordx4 v[52:55], v18, s[8:9] offset:16
	v_add_u32_e32 v30, 0x120, v0
	v_mul_u32_u24_sdwa v14, v30, s4 dst_sel:DWORD dst_unused:UNUSED_PAD src0_sel:WORD_0 src1_sel:DWORD
	v_lshrrev_b32_e32 v14, 18, v14
	v_mul_lo_u16_e32 v15, 6, v14
	v_sub_u16_e32 v15, v30, v15
	v_mul_u32_u24_e32 v16, 5, v15
	v_add_u32_e32 v31, 0x1b0, v0
	v_lshlrev_b32_e32 v20, 3, v16
	v_mul_u32_u24_sdwa v16, v31, s4 dst_sel:DWORD dst_unused:UNUSED_PAD src0_sel:WORD_0 src1_sel:DWORD
	global_load_dwordx4 v[56:59], v20, s[8:9]
	v_lshrrev_b32_e32 v16, 18, v16
	v_mul_lo_u16_e32 v17, 6, v16
	v_sub_u16_e32 v17, v31, v17
	v_mul_u32_u24_e32 v19, 5, v17
	v_lshlrev_b32_e32 v21, 3, v19
	global_load_dwordx4 v[60:63], v21, s[8:9]
	global_load_dwordx4 v[64:67], v20, s[8:9] offset:16
	global_load_dwordx4 v[68:71], v21, s[8:9] offset:16
	global_load_dwordx2 v[32:33], v8, s[8:9] offset:32
	global_load_dwordx2 v[94:95], v18, s[8:9] offset:32
	;; [unrolled: 1-line block ×4, first 2 shown]
	ds_read2_b32 v[92:93], v9 offset0:64 offset1:208
	ds_read2_b32 v[96:97], v41 offset1:144
	v_mul_u32_u24_e32 v6, 0x90, v6
	v_mul_u32_u24_e32 v14, 0x90, v14
	v_lshlrev_b32_e32 v15, 2, v15
	v_add3_u32 v14, 0, v14, v15
	s_mov_b32 s4, 0xe38f
	s_waitcnt vmcnt(11)
	v_mul_f32_e32 v8, v72, v23
	s_waitcnt lgkmcnt(1)
	v_mul_f32_e32 v19, v92, v23
	v_fma_f32 v23, v92, v22, -v8
	v_mul_f32_e32 v8, v74, v25
	s_waitcnt lgkmcnt(0)
	v_mul_f32_e32 v34, v96, v25
	v_fma_f32 v37, v96, v24, -v8
	s_waitcnt vmcnt(10)
	v_mul_f32_e32 v8, v73, v27
	v_fmac_f32_e32 v34, v74, v24
	v_mul_f32_e32 v21, v93, v27
	v_fma_f32 v24, v93, v26, -v8
	v_mul_f32_e32 v25, v97, v29
	v_mul_f32_e32 v8, v75, v29
	v_fmac_f32_e32 v19, v72, v22
	v_fmac_f32_e32 v21, v73, v26
	ds_read2_b32 v[72:73], v38 offset0:64 offset1:208
	v_fmac_f32_e32 v25, v75, v28
	v_fma_f32 v27, v97, v28, -v8
	ds_read2_b32 v[28:29], v45 offset1:144
	s_waitcnt vmcnt(9)
	v_mul_f32_e32 v18, v76, v49
	s_waitcnt lgkmcnt(1)
	v_mul_f32_e32 v8, v72, v49
	v_fma_f32 v72, v72, v48, -v18
	v_mul_f32_e32 v18, v78, v51
	s_waitcnt lgkmcnt(0)
	v_mul_f32_e32 v74, v28, v51
	v_fmac_f32_e32 v74, v78, v50
	v_fma_f32 v50, v28, v50, -v18
	s_waitcnt vmcnt(8)
	v_mul_f32_e32 v51, v73, v53
	v_mul_f32_e32 v18, v77, v53
	v_fmac_f32_e32 v8, v76, v48
	v_fmac_f32_e32 v51, v77, v52
	v_fma_f32 v52, v73, v52, -v18
	ds_read2_b32 v[48:49], v39 offset0:96 offset1:240
	v_mul_f32_e32 v18, v79, v55
	v_mul_f32_e32 v53, v29, v55
	v_fma_f32 v26, v29, v54, -v18
	ds_read2_b32 v[28:29], v46 offset0:32 offset1:176
	s_waitcnt vmcnt(7)
	v_mul_f32_e32 v20, v82, v57
	s_waitcnt lgkmcnt(1)
	v_mul_f32_e32 v18, v48, v57
	v_fma_f32 v20, v48, v56, -v20
	v_mul_f32_e32 v48, v84, v59
	v_fmac_f32_e32 v53, v79, v54
	s_waitcnt lgkmcnt(0)
	v_mul_f32_e32 v22, v28, v59
	v_fma_f32 v54, v28, v58, -v48
	s_waitcnt vmcnt(6)
	v_mul_f32_e32 v28, v83, v61
	v_fmac_f32_e32 v18, v82, v56
	v_mul_f32_e32 v55, v49, v61
	v_fma_f32 v56, v49, v60, -v28
	ds_read2_b32 v[48:49], v44 offset0:96 offset1:240
	v_mul_f32_e32 v28, v85, v63
	v_fmac_f32_e32 v22, v84, v58
	v_mul_f32_e32 v57, v29, v63
	v_fma_f32 v58, v29, v62, -v28
	ds_read2_b32 v[28:29], v40 offset0:32 offset1:176
	v_fmac_f32_e32 v55, v83, v60
	s_waitcnt vmcnt(5)
	v_mul_f32_e32 v60, v86, v65
	s_waitcnt lgkmcnt(1)
	v_mul_f32_e32 v59, v48, v65
	v_fma_f32 v60, v48, v64, -v60
	v_mul_f32_e32 v48, v88, v67
	v_fmac_f32_e32 v57, v85, v62
	s_waitcnt lgkmcnt(0)
	v_mul_f32_e32 v61, v28, v67
	v_fma_f32 v62, v28, v66, -v48
	s_waitcnt vmcnt(4)
	v_mul_f32_e32 v28, v87, v69
	v_fmac_f32_e32 v59, v86, v64
	v_mul_f32_e32 v63, v49, v69
	v_fma_f32 v64, v49, v68, -v28
	ds_read2_b32 v[48:49], v42 offset0:64 offset1:208
	v_mul_f32_e32 v28, v89, v71
	v_fmac_f32_e32 v61, v88, v66
	v_fma_f32 v66, v29, v70, -v28
	s_waitcnt vmcnt(3)
	v_mul_f32_e32 v28, v80, v33
	v_mul_f32_e32 v65, v29, v71
	s_waitcnt lgkmcnt(0)
	v_mul_f32_e32 v67, v48, v33
	v_fma_f32 v48, v48, v32, -v28
	ds_read2_b32 v[28:29], v47 offset0:96 offset1:240
	v_fmac_f32_e32 v67, v80, v32
	s_waitcnt vmcnt(2)
	v_mul_f32_e32 v32, v81, v95
	v_fmac_f32_e32 v63, v87, v68
	v_mul_f32_e32 v68, v49, v95
	v_fma_f32 v49, v49, v94, -v32
	s_waitcnt vmcnt(1)
	v_mul_f32_e32 v32, v90, v99
	v_fmac_f32_e32 v65, v89, v70
	s_waitcnt lgkmcnt(0)
	v_mul_f32_e32 v69, v28, v99
	v_fma_f32 v70, v28, v98, -v32
	s_waitcnt vmcnt(0)
	v_mul_f32_e32 v28, v91, v101
	v_fmac_f32_e32 v68, v81, v94
	v_fmac_f32_e32 v69, v90, v98
	v_fma_f32 v90, v29, v100, -v28
	v_add_f32_e32 v28, v25, v53
	v_add_f32_e32 v73, v36, v25
	v_fmac_f32_e32 v36, -0.5, v28
	v_add_f32_e32 v28, v51, v68
	v_mul_f32_e32 v71, v29, v101
	v_add_f32_e32 v75, v21, v51
	v_fmac_f32_e32 v21, -0.5, v28
	v_add_f32_e32 v28, v52, v49
	v_fmac_f32_e32 v71, v91, v100
	v_add_f32_e32 v91, v24, v52
	v_fmac_f32_e32 v24, -0.5, v28
	v_sub_f32_e32 v51, v51, v68
	v_add_f32_e32 v28, v34, v74
	v_sub_f32_e32 v52, v52, v49
	v_mov_b32_e32 v93, v24
	v_fmac_f32_e32 v24, 0xbf5db3d7, v51
	v_fma_f32 v76, -0.5, v28, v35
	v_sub_f32_e32 v77, v27, v26
	v_mov_b32_e32 v92, v21
	v_fmac_f32_e32 v21, 0x3f5db3d7, v52
	v_mul_f32_e32 v28, 0xbf5db3d7, v24
	v_add_f32_e32 v29, v19, v8
	v_add_f32_e32 v32, v8, v67
	v_mov_b32_e32 v78, v36
	v_fmac_f32_e32 v36, 0x3f5db3d7, v77
	v_fmac_f32_e32 v28, -0.5, v21
	v_fmac_f32_e32 v19, -0.5, v32
	v_add_f32_e32 v32, v72, v48
	v_add_f32_e32 v80, v29, v67
	v_sub_f32_e32 v67, v8, v67
	v_mov_b32_e32 v8, 2
	v_add_f32_e32 v79, v36, v28
	v_sub_f32_e32 v36, v36, v28
	v_add_f32_e32 v28, v35, v34
	v_add_f32_e32 v35, v23, v72
	v_fmac_f32_e32 v23, -0.5, v32
	v_lshlrev_b32_sdwa v7, v8, v7 dst_sel:DWORD dst_unused:UNUSED_PAD src0_sel:DWORD src1_sel:BYTE_0
	v_add3_u32 v94, 0, v6, v7
	v_sub_f32_e32 v7, v37, v50
	v_mov_b32_e32 v81, v76
	v_sub_f32_e32 v72, v72, v48
	v_mov_b32_e32 v83, v23
	v_fmac_f32_e32 v23, 0xbf5db3d7, v67
	v_fmac_f32_e32 v81, 0xbf5db3d7, v7
	v_mov_b32_e32 v82, v19
	v_fmac_f32_e32 v83, 0x3f5db3d7, v67
	v_fmac_f32_e32 v76, 0x3f5db3d7, v7
	;; [unrolled: 1-line block ×3, first 2 shown]
	v_mul_f32_e32 v7, 0xbf5db3d7, v23
	v_add_f32_e32 v6, v28, v74
	v_fmac_f32_e32 v82, 0xbf5db3d7, v72
	v_mul_f32_e32 v84, 0xbf5db3d7, v83
	v_fmac_f32_e32 v7, -0.5, v19
	v_fmac_f32_e32 v84, 0.5, v82
	v_add_f32_e32 v85, v6, v80
	v_sub_f32_e32 v6, v6, v80
	v_add_f32_e32 v67, v76, v7
	ds_read2_b32 v[28:29], v1 offset1:144
	ds_read2_b32 v[32:33], v43 offset0:32 offset1:176
	s_waitcnt lgkmcnt(0)
	s_barrier
	ds_write2_b32 v94, v67, v6 offset0:12 offset1:18
	v_sub_f32_e32 v6, v81, v84
	v_sub_f32_e32 v7, v76, v7
	ds_write2_b32 v94, v6, v7 offset0:24 offset1:30
	v_fmac_f32_e32 v93, 0x3f5db3d7, v51
	v_mul_u32_u24_e32 v7, 0x90, v12
	v_lshlrev_b32_e32 v12, 2, v13
	v_add_f32_e32 v6, v75, v68
	v_fmac_f32_e32 v92, 0xbf5db3d7, v52
	v_add3_u32 v12, 0, v7, v12
	v_add_f32_e32 v7, v73, v53
	v_mul_f32_e32 v13, 0xbf5db3d7, v93
	v_add_f32_e32 v86, v81, v84
	v_fmac_f32_e32 v78, 0xbf5db3d7, v77
	v_fmac_f32_e32 v13, 0.5, v92
	v_add_f32_e32 v51, v7, v6
	v_sub_f32_e32 v6, v7, v6
	ds_write2_b32 v94, v85, v86 offset1:6
	ds_write2_b32 v12, v79, v6 offset0:12 offset1:18
	v_sub_f32_e32 v6, v78, v13
	v_add_f32_e32 v52, v78, v13
	ds_write2_b32 v12, v6, v36 offset0:24 offset1:30
	v_add_f32_e32 v7, v57, v65
	v_add_f32_e32 v13, v63, v71
	;; [unrolled: 1-line block ×4, first 2 shown]
	v_fmac_f32_e32 v5, -0.5, v7
	v_add_f32_e32 v7, v55, v63
	v_fmac_f32_e32 v55, -0.5, v13
	v_add_f32_e32 v13, v56, v64
	v_fmac_f32_e32 v56, -0.5, v36
	v_sub_f32_e32 v63, v63, v71
	v_sub_f32_e32 v64, v64, v90
	v_mov_b32_e32 v68, v56
	v_fmac_f32_e32 v56, 0xbf5db3d7, v63
	ds_write2_b32 v12, v51, v52 offset1:6
	v_sub_f32_e32 v51, v58, v66
	v_mov_b32_e32 v67, v55
	v_fmac_f32_e32 v55, 0x3f5db3d7, v64
	v_mul_f32_e32 v72, 0xbf5db3d7, v56
	v_mov_b32_e32 v52, v5
	v_fmac_f32_e32 v5, 0x3f5db3d7, v51
	v_fmac_f32_e32 v72, -0.5, v55
	v_add_f32_e32 v75, v59, v69
	v_add_f32_e32 v36, v22, v61
	;; [unrolled: 1-line block ×3, first 2 shown]
	v_sub_f32_e32 v5, v5, v72
	v_add_f32_e32 v72, v18, v59
	v_fmac_f32_e32 v18, -0.5, v75
	v_add_f32_e32 v75, v60, v70
	v_fma_f32 v36, -0.5, v36, v4
	v_add_f32_e32 v95, v20, v60
	v_fmac_f32_e32 v20, -0.5, v75
	v_sub_f32_e32 v59, v59, v69
	v_add_f32_e32 v72, v72, v69
	v_sub_f32_e32 v15, v54, v62
	v_mov_b32_e32 v69, v36
	v_sub_f32_e32 v60, v60, v70
	v_mov_b32_e32 v97, v20
	v_fmac_f32_e32 v20, 0xbf5db3d7, v59
	v_add_f32_e32 v4, v4, v22
	v_fmac_f32_e32 v69, 0xbf5db3d7, v15
	v_mov_b32_e32 v96, v18
	v_fmac_f32_e32 v97, 0x3f5db3d7, v59
	v_fmac_f32_e32 v36, 0x3f5db3d7, v15
	;; [unrolled: 1-line block ×3, first 2 shown]
	v_mul_f32_e32 v15, 0xbf5db3d7, v20
	v_add_f32_e32 v4, v4, v61
	v_fmac_f32_e32 v96, 0xbf5db3d7, v60
	v_mul_f32_e32 v75, 0xbf5db3d7, v97
	v_fmac_f32_e32 v15, -0.5, v18
	v_fmac_f32_e32 v75, 0.5, v96
	v_add_f32_e32 v76, v4, v72
	v_sub_f32_e32 v4, v4, v72
	v_add_f32_e32 v59, v36, v15
	ds_write2_b32 v14, v59, v4 offset0:12 offset1:18
	v_sub_f32_e32 v4, v69, v75
	v_sub_f32_e32 v15, v36, v15
	ds_write2_b32 v14, v4, v15 offset0:24 offset1:30
	v_add_f32_e32 v4, v7, v71
	v_fmac_f32_e32 v68, 0x3f5db3d7, v63
	v_mul_u32_u24_e32 v7, 0x90, v16
	v_lshlrev_b32_e32 v15, 2, v17
	v_fmac_f32_e32 v67, 0xbf5db3d7, v64
	v_add3_u32 v15, 0, v7, v15
	v_add_f32_e32 v6, v6, v65
	v_mul_f32_e32 v7, 0xbf5db3d7, v68
	v_add_f32_e32 v77, v69, v75
	v_fmac_f32_e32 v52, 0xbf5db3d7, v51
	v_fmac_f32_e32 v7, 0.5, v67
	v_add_f32_e32 v16, v6, v4
	v_sub_f32_e32 v4, v6, v4
	ds_write2_b32 v14, v76, v77 offset1:6
	ds_write2_b32 v15, v73, v4 offset0:12 offset1:18
	v_sub_f32_e32 v4, v52, v7
	v_add_f32_e32 v17, v52, v7
	ds_write2_b32 v15, v4, v5 offset0:24 offset1:30
	v_add_f32_e32 v4, v28, v37
	ds_write2_b32 v15, v16, v17 offset1:6
	v_add_f32_e32 v16, v4, v50
	v_add_f32_e32 v4, v37, v50
	v_fma_f32 v28, -0.5, v4, v28
	v_sub_f32_e32 v17, v34, v74
	v_add_f32_e32 v34, v35, v48
	v_mov_b32_e32 v48, v28
	v_fmac_f32_e32 v48, 0x3f5db3d7, v17
	v_fmac_f32_e32 v28, 0xbf5db3d7, v17
	v_mul_f32_e32 v17, -0.5, v23
	v_mul_f32_e32 v35, 0.5, v83
	v_fmac_f32_e32 v17, 0x3f5db3d7, v19
	v_fmac_f32_e32 v35, 0x3f5db3d7, v82
	v_add_f32_e32 v50, v16, v34
	v_sub_f32_e32 v16, v16, v34
	v_add_f32_e32 v19, v28, v17
	s_waitcnt lgkmcnt(0)
	s_barrier
	ds_read2_b32 v[6:7], v1 offset1:144
	ds_read2_b32 v[36:37], v9 offset0:64 offset1:208
	ds_read2_b32 v[72:73], v41 offset1:144
	ds_read2_b32 v[74:75], v38 offset0:64 offset1:208
	;; [unrolled: 2-line block ×3, first 2 shown]
	ds_read2_b32 v[4:5], v43 offset0:32 offset1:176
	ds_read2_b32 v[80:81], v39 offset0:96 offset1:240
	;; [unrolled: 1-line block ×6, first 2 shown]
	s_waitcnt lgkmcnt(0)
	s_barrier
	ds_write2_b32 v94, v19, v16 offset0:12 offset1:18
	v_sub_f32_e32 v16, v48, v35
	v_sub_f32_e32 v17, v28, v17
	ds_write2_b32 v94, v16, v17 offset0:24 offset1:30
	v_add_f32_e32 v17, v27, v26
	v_add_f32_e32 v16, v29, v27
	v_fmac_f32_e32 v29, -0.5, v17
	v_sub_f32_e32 v17, v25, v53
	v_mul_f32_e32 v19, -0.5, v24
	v_fmac_f32_e32 v19, 0x3f5db3d7, v21
	v_mov_b32_e32 v21, v29
	v_fmac_f32_e32 v29, 0xbf5db3d7, v17
	v_add_f32_e32 v25, v58, v66
	v_add_f32_e32 v23, v29, v19
	v_sub_f32_e32 v19, v29, v19
	v_add_f32_e32 v24, v33, v58
	v_fmac_f32_e32 v33, -0.5, v25
	v_sub_f32_e32 v25, v57, v65
	v_mul_f32_e32 v27, -0.5, v56
	v_add_f32_e32 v29, v54, v62
	v_fmac_f32_e32 v27, 0x3f5db3d7, v55
	v_add_f32_e32 v28, v32, v54
	v_fma_f32 v29, -0.5, v29, v32
	v_mov_b32_e32 v32, v33
	v_fmac_f32_e32 v33, 0xbf5db3d7, v25
	v_add_f32_e32 v16, v16, v26
	v_fmac_f32_e32 v21, 0x3f5db3d7, v17
	v_add_f32_e32 v17, v91, v49
	v_mul_f32_e32 v26, 0.5, v93
	v_add_f32_e32 v51, v48, v35
	v_add_f32_e32 v34, v33, v27
	v_sub_f32_e32 v27, v33, v27
	v_fmac_f32_e32 v26, 0x3f5db3d7, v92
	v_add_f32_e32 v33, v16, v17
	v_sub_f32_e32 v16, v16, v17
	ds_write2_b32 v94, v50, v51 offset1:6
	v_add_f32_e32 v35, v21, v26
	ds_write2_b32 v12, v23, v16 offset0:12 offset1:18
	v_sub_f32_e32 v16, v21, v26
	v_sub_f32_e32 v21, v22, v61
	v_mov_b32_e32 v22, v29
	v_mul_f32_e32 v23, 0.5, v97
	v_mul_f32_e32 v20, -0.5, v20
	v_fmac_f32_e32 v32, 0x3f5db3d7, v25
	v_mul_f32_e32 v25, 0.5, v68
	v_add_f32_e32 v17, v28, v62
	v_fmac_f32_e32 v22, 0x3f5db3d7, v21
	v_fmac_f32_e32 v29, 0xbf5db3d7, v21
	v_add_f32_e32 v21, v95, v70
	v_fmac_f32_e32 v23, 0x3f5db3d7, v96
	v_fmac_f32_e32 v20, 0x3f5db3d7, v18
	v_add_f32_e32 v24, v24, v66
	v_add_f32_e32 v13, v13, v90
	v_fmac_f32_e32 v25, 0x3f5db3d7, v67
	ds_write2_b32 v12, v33, v35 offset1:6
	v_add_f32_e32 v18, v17, v21
	v_sub_f32_e32 v17, v17, v21
	v_add_f32_e32 v21, v22, v23
	v_sub_f32_e32 v22, v22, v23
	;; [unrolled: 2-line block ×5, first 2 shown]
	ds_write2_b32 v12, v16, v19 offset0:24 offset1:30
	ds_write2_b32 v14, v18, v21 offset1:6
	ds_write2_b32 v14, v23, v17 offset0:12 offset1:18
	ds_write2_b32 v14, v22, v20 offset0:24 offset1:30
	ds_write2_b32 v15, v26, v24 offset1:6
	ds_write2_b32 v15, v34, v13 offset0:12 offset1:18
	ds_write2_b32 v15, v25, v27 offset0:24 offset1:30
	v_mov_b32_e32 v12, 57
	v_mul_lo_u16_sdwa v12, v0, v12 dst_sel:DWORD dst_unused:UNUSED_PAD src0_sel:BYTE_0 src1_sel:DWORD
	v_lshrrev_b16_e32 v12, 11, v12
	v_mul_lo_u16_e32 v13, 36, v12
	v_sub_u16_e32 v14, v0, v13
	v_mul_u32_u24_sdwa v11, v14, v11 dst_sel:DWORD dst_unused:UNUSED_PAD src0_sel:BYTE_0 src1_sel:DWORD
	v_lshlrev_b32_e32 v17, 3, v11
	v_mul_u32_u24_sdwa v11, v10, s4 dst_sel:DWORD dst_unused:UNUSED_PAD src0_sel:WORD_0 src1_sel:DWORD
	v_lshrrev_b32_e32 v11, 21, v11
	s_waitcnt lgkmcnt(0)
	s_barrier
	global_load_dwordx4 v[25:28], v17, s[8:9] offset:240
	v_mul_lo_u16_e32 v13, 36, v11
	v_sub_u16_e32 v13, v10, v13
	v_mul_u32_u24_e32 v15, 5, v13
	v_lshlrev_b32_e32 v18, 3, v15
	global_load_dwordx4 v[32:35], v18, s[8:9] offset:240
	global_load_dwordx4 v[48:51], v17, s[8:9] offset:256
	;; [unrolled: 1-line block ×3, first 2 shown]
	v_mul_u32_u24_sdwa v15, v30, s4 dst_sel:DWORD dst_unused:UNUSED_PAD src0_sel:WORD_0 src1_sel:DWORD
	v_lshrrev_b32_e32 v15, 21, v15
	v_mul_lo_u16_e32 v16, 36, v15
	v_sub_u16_e32 v16, v30, v16
	v_mul_u32_u24_e32 v19, 5, v16
	v_mul_u32_u24_sdwa v20, v31, s4 dst_sel:DWORD dst_unused:UNUSED_PAD src0_sel:WORD_0 src1_sel:DWORD
	v_lshlrev_b32_e32 v19, 3, v19
	v_lshrrev_b32_e32 v23, 21, v20
	global_load_dwordx4 v[56:59], v19, s[8:9] offset:240
	v_mul_lo_u16_e32 v20, 36, v23
	v_sub_u16_e32 v24, v31, v20
	v_mul_u32_u24_e32 v20, 5, v24
	v_lshlrev_b32_e32 v20, 3, v20
	global_load_dwordx4 v[60:63], v20, s[8:9] offset:240
	global_load_dwordx4 v[64:67], v19, s[8:9] offset:256
	;; [unrolled: 1-line block ×3, first 2 shown]
	global_load_dwordx2 v[90:91], v17, s[8:9] offset:272
	global_load_dwordx2 v[92:93], v18, s[8:9] offset:272
	;; [unrolled: 1-line block ×4, first 2 shown]
	ds_read2_b32 v[21:22], v9 offset0:64 offset1:208
	ds_read2_b32 v[94:95], v41 offset1:144
	v_lshlrev_b32_sdwa v8, v8, v14 dst_sel:DWORD dst_unused:UNUSED_PAD src0_sel:DWORD src1_sel:BYTE_0
	v_mul_u32_u24_e32 v12, 0x360, v12
	v_mul_u32_u24_e32 v15, 0x360, v15
	v_lshlrev_b32_e32 v16, 2, v16
	v_add3_u32 v15, 0, v15, v16
	s_movk_i32 s4, 0x48
	v_cmp_gt_u32_e32 vcc, s4, v0
	s_movk_i32 s4, 0x47
	s_waitcnt vmcnt(11)
	v_mul_f32_e32 v9, v36, v26
	s_waitcnt lgkmcnt(1)
	v_mul_f32_e32 v18, v21, v26
	v_fma_f32 v21, v21, v25, -v9
	s_waitcnt lgkmcnt(0)
	v_mul_f32_e32 v9, v94, v28
	v_mul_f32_e32 v17, v72, v28
	v_fmac_f32_e32 v9, v72, v27
	v_fma_f32 v72, v94, v27, -v17
	s_waitcnt vmcnt(10)
	v_mul_f32_e32 v20, v22, v33
	v_mul_f32_e32 v17, v37, v33
	v_fmac_f32_e32 v18, v36, v25
	v_fmac_f32_e32 v20, v37, v32
	v_fma_f32 v25, v22, v32, -v17
	ds_read2_b32 v[32:33], v38 offset0:64 offset1:208
	v_mul_f32_e32 v26, v95, v35
	v_mul_f32_e32 v17, v73, v35
	v_fmac_f32_e32 v26, v73, v34
	v_fma_f32 v28, v95, v34, -v17
	ds_read2_b32 v[34:35], v45 offset1:144
	s_waitcnt vmcnt(9) lgkmcnt(1)
	v_mul_f32_e32 v73, v32, v49
	v_mul_f32_e32 v17, v74, v49
	v_fmac_f32_e32 v73, v74, v48
	v_fma_f32 v74, v32, v48, -v17
	ds_read2_b32 v[48:49], v46 offset0:32 offset1:176
	ds_read2_b32 v[36:37], v39 offset0:96 offset1:240
	s_waitcnt lgkmcnt(2)
	v_mul_f32_e32 v94, v34, v51
	v_mul_f32_e32 v17, v76, v51
	v_fmac_f32_e32 v94, v76, v50
	v_fma_f32 v76, v34, v50, -v17
	s_waitcnt vmcnt(8)
	v_mul_f32_e32 v95, v33, v53
	v_mul_f32_e32 v17, v75, v53
	s_waitcnt vmcnt(7)
	v_mul_f32_e32 v29, v82, v59
	v_fmac_f32_e32 v95, v75, v52
	v_fma_f32 v52, v33, v52, -v17
	v_mul_f32_e32 v17, v77, v55
	v_mul_f32_e32 v19, v80, v57
	s_waitcnt lgkmcnt(1)
	v_fma_f32 v33, v48, v58, -v29
	s_waitcnt vmcnt(6)
	v_mul_f32_e32 v29, v81, v61
	v_mul_f32_e32 v34, v35, v55
	v_fma_f32 v27, v35, v54, -v17
	s_waitcnt lgkmcnt(0)
	v_mul_f32_e32 v17, v36, v57
	v_fma_f32 v19, v36, v56, -v19
	v_mul_f32_e32 v36, v37, v61
	v_fma_f32 v37, v37, v60, -v29
	ds_read2_b32 v[50:51], v44 offset0:96 offset1:240
	v_mul_f32_e32 v29, v83, v63
	v_fmac_f32_e32 v34, v77, v54
	v_mul_f32_e32 v22, v48, v59
	v_mul_f32_e32 v53, v49, v63
	v_fma_f32 v54, v49, v62, -v29
	ds_read2_b32 v[48:49], v40 offset0:32 offset1:176
	s_waitcnt vmcnt(5)
	v_mul_f32_e32 v29, v84, v65
	v_fmac_f32_e32 v17, v80, v56
	s_waitcnt lgkmcnt(1)
	v_fma_f32 v56, v50, v64, -v29
	v_mul_f32_e32 v29, v86, v67
	s_waitcnt lgkmcnt(0)
	v_fma_f32 v35, v48, v66, -v29
	s_waitcnt vmcnt(4)
	v_mul_f32_e32 v29, v85, v69
	v_fmac_f32_e32 v22, v82, v58
	v_mul_f32_e32 v55, v50, v65
	v_mul_f32_e32 v57, v51, v69
	v_fma_f32 v58, v51, v68, -v29
	ds_read2_b32 v[50:51], v42 offset0:64 offset1:208
	v_mul_f32_e32 v32, v48, v67
	v_mul_f32_e32 v29, v87, v71
	s_waitcnt vmcnt(3)
	v_mul_f32_e32 v48, v78, v91
	v_fmac_f32_e32 v36, v81, v60
	v_mul_f32_e32 v75, v49, v71
	v_fma_f32 v29, v49, v70, -v29
	s_waitcnt lgkmcnt(0)
	v_fma_f32 v60, v50, v90, -v48
	ds_read2_b32 v[48:49], v47 offset0:96 offset1:240
	v_mul_f32_e32 v59, v50, v91
	s_waitcnt vmcnt(2)
	v_mul_f32_e32 v50, v79, v93
	v_fma_f32 v77, v51, v92, -v50
	s_waitcnt vmcnt(1)
	v_mul_f32_e32 v50, v88, v97
	v_fmac_f32_e32 v53, v83, v62
	v_fmac_f32_e32 v59, v78, v90
	v_mul_f32_e32 v61, v51, v93
	s_waitcnt lgkmcnt(0)
	v_mul_f32_e32 v62, v48, v97
	v_fma_f32 v78, v48, v96, -v50
	s_waitcnt vmcnt(0)
	v_mul_f32_e32 v48, v89, v99
	v_fmac_f32_e32 v61, v79, v92
	v_fma_f32 v79, v49, v98, -v48
	v_add_f32_e32 v48, v26, v34
	v_fmac_f32_e32 v55, v84, v64
	v_add_f32_e32 v64, v7, v26
	v_fmac_f32_e32 v7, -0.5, v48
	v_add_f32_e32 v48, v95, v61
	v_add_f32_e32 v65, v20, v95
	v_fmac_f32_e32 v20, -0.5, v48
	v_add_f32_e32 v48, v52, v77
	v_add_f32_e32 v80, v25, v52
	v_fmac_f32_e32 v25, -0.5, v48
	v_sub_f32_e32 v69, v95, v61
	v_add_f32_e32 v48, v9, v94
	v_sub_f32_e32 v52, v52, v77
	v_mov_b32_e32 v82, v25
	v_fmac_f32_e32 v25, 0xbf5db3d7, v69
	v_fmac_f32_e32 v32, v86, v66
	v_fma_f32 v66, -0.5, v48, v6
	v_sub_f32_e32 v67, v28, v27
	v_mov_b32_e32 v81, v20
	v_fmac_f32_e32 v20, 0x3f5db3d7, v52
	v_mul_f32_e32 v48, 0xbf5db3d7, v25
	v_fmac_f32_e32 v57, v85, v68
	v_mul_f32_e32 v63, v49, v99
	v_mov_b32_e32 v68, v7
	v_fmac_f32_e32 v7, 0x3f5db3d7, v67
	v_fmac_f32_e32 v48, -0.5, v20
	v_add_f32_e32 v49, v73, v59
	v_fmac_f32_e32 v75, v87, v70
	v_add_f32_e32 v70, v7, v48
	v_sub_f32_e32 v7, v7, v48
	v_add_f32_e32 v48, v18, v73
	v_fmac_f32_e32 v18, -0.5, v49
	v_add_f32_e32 v49, v74, v60
	v_add_f32_e32 v71, v21, v74
	v_fmac_f32_e32 v21, -0.5, v49
	v_add_f32_e32 v83, v48, v59
	v_sub_f32_e32 v59, v73, v59
	v_add3_u32 v84, 0, v12, v8
	v_sub_f32_e32 v8, v72, v76
	v_mov_b32_e32 v12, v66
	v_sub_f32_e32 v14, v74, v60
	v_mov_b32_e32 v74, v21
	v_fmac_f32_e32 v21, 0xbf5db3d7, v59
	v_add_f32_e32 v6, v6, v9
	v_fmac_f32_e32 v12, 0xbf5db3d7, v8
	v_mov_b32_e32 v73, v18
	v_fmac_f32_e32 v74, 0x3f5db3d7, v59
	v_fmac_f32_e32 v66, 0x3f5db3d7, v8
	;; [unrolled: 1-line block ×3, first 2 shown]
	v_mul_f32_e32 v8, 0xbf5db3d7, v21
	v_add_f32_e32 v6, v6, v94
	v_fmac_f32_e32 v73, 0xbf5db3d7, v14
	v_mul_f32_e32 v85, 0xbf5db3d7, v74
	v_fmac_f32_e32 v8, -0.5, v18
	v_fmac_f32_e32 v85, 0.5, v73
	v_add_f32_e32 v86, v6, v83
	v_sub_f32_e32 v6, v6, v83
	v_add_f32_e32 v14, v66, v8
	ds_read2_b32 v[48:49], v1 offset1:144
	ds_read2_b32 v[50:51], v43 offset0:32 offset1:176
	s_waitcnt lgkmcnt(0)
	s_barrier
	ds_write2_b32 v84, v14, v6 offset0:72 offset1:108
	v_sub_f32_e32 v6, v12, v85
	v_sub_f32_e32 v8, v66, v8
	ds_write2_b32 v84, v6, v8 offset0:144 offset1:180
	v_fmac_f32_e32 v82, 0x3f5db3d7, v69
	v_mul_u32_u24_e32 v8, 0x360, v11
	v_lshlrev_b32_e32 v11, 2, v13
	v_add_f32_e32 v6, v65, v61
	v_fmac_f32_e32 v81, 0xbf5db3d7, v52
	v_add3_u32 v13, 0, v8, v11
	v_add_f32_e32 v8, v64, v34
	v_mul_f32_e32 v11, 0xbf5db3d7, v82
	v_add_f32_e32 v87, v12, v85
	v_fmac_f32_e32 v68, 0xbf5db3d7, v67
	v_fmac_f32_e32 v11, 0.5, v81
	v_add_f32_e32 v12, v8, v6
	v_sub_f32_e32 v6, v8, v6
	v_fmac_f32_e32 v63, v89, v98
	ds_write2_b32 v84, v86, v87 offset1:36
	ds_write2_b32 v13, v70, v6 offset0:72 offset1:108
	v_sub_f32_e32 v6, v68, v11
	ds_write2_b32 v13, v6, v7 offset0:144 offset1:180
	v_add_f32_e32 v7, v53, v75
	v_add_f32_e32 v8, v57, v63
	;; [unrolled: 1-line block ×3, first 2 shown]
	v_fmac_f32_e32 v5, -0.5, v7
	v_add_f32_e32 v7, v36, v57
	v_fmac_f32_e32 v36, -0.5, v8
	v_add_f32_e32 v8, v58, v79
	v_add_f32_e32 v14, v68, v11
	;; [unrolled: 1-line block ×3, first 2 shown]
	v_fmac_f32_e32 v37, -0.5, v8
	v_sub_f32_e32 v57, v57, v63
	ds_write2_b32 v13, v12, v14 offset1:36
	v_sub_f32_e32 v14, v58, v79
	v_mov_b32_e32 v85, v37
	v_fmac_f32_e32 v37, 0xbf5db3d7, v57
	v_fmac_f32_e32 v62, v88, v96
	v_sub_f32_e32 v11, v54, v29
	v_mov_b32_e32 v83, v36
	v_fmac_f32_e32 v36, 0x3f5db3d7, v14
	v_mul_f32_e32 v58, 0xbf5db3d7, v37
	v_mov_b32_e32 v12, v5
	v_fmac_f32_e32 v5, 0x3f5db3d7, v11
	v_fmac_f32_e32 v58, -0.5, v36
	v_add_f32_e32 v61, v55, v62
	v_add_f32_e32 v8, v22, v32
	;; [unrolled: 1-line block ×3, first 2 shown]
	v_sub_f32_e32 v5, v5, v58
	v_add_f32_e32 v58, v17, v55
	v_fmac_f32_e32 v17, -0.5, v61
	v_add_f32_e32 v61, v56, v78
	v_fma_f32 v8, -0.5, v8, v4
	v_add_f32_e32 v86, v19, v56
	v_fmac_f32_e32 v19, -0.5, v61
	v_sub_f32_e32 v55, v55, v62
	v_sub_f32_e32 v16, v33, v35
	v_mov_b32_e32 v61, v8
	v_sub_f32_e32 v56, v56, v78
	v_mov_b32_e32 v88, v19
	v_fmac_f32_e32 v19, 0xbf5db3d7, v55
	v_add_f32_e32 v4, v4, v22
	v_fmac_f32_e32 v61, 0xbf5db3d7, v16
	v_mov_b32_e32 v87, v17
	v_fmac_f32_e32 v88, 0x3f5db3d7, v55
	v_fmac_f32_e32 v8, 0x3f5db3d7, v16
	;; [unrolled: 1-line block ×3, first 2 shown]
	v_mul_f32_e32 v16, 0xbf5db3d7, v19
	v_add_f32_e32 v58, v58, v62
	v_add_f32_e32 v4, v4, v32
	v_fmac_f32_e32 v87, 0xbf5db3d7, v56
	v_mul_f32_e32 v62, 0xbf5db3d7, v88
	v_fmac_f32_e32 v16, -0.5, v17
	v_fmac_f32_e32 v62, 0.5, v87
	v_add_f32_e32 v64, v4, v58
	v_sub_f32_e32 v4, v4, v58
	v_add_f32_e32 v55, v8, v16
	ds_write2_b32 v15, v55, v4 offset0:72 offset1:108
	v_sub_f32_e32 v4, v61, v62
	v_sub_f32_e32 v8, v8, v16
	ds_write2_b32 v15, v4, v8 offset0:144 offset1:180
	v_add_f32_e32 v4, v7, v63
	v_fmac_f32_e32 v85, 0x3f5db3d7, v57
	v_mul_u32_u24_e32 v7, 0x360, v23
	v_lshlrev_b32_e32 v8, 2, v24
	v_fmac_f32_e32 v83, 0xbf5db3d7, v14
	v_add3_u32 v16, 0, v7, v8
	v_add_f32_e32 v6, v6, v75
	v_mul_f32_e32 v7, 0xbf5db3d7, v85
	v_add_f32_e32 v65, v61, v62
	v_fmac_f32_e32 v12, 0xbf5db3d7, v11
	v_fmac_f32_e32 v7, 0.5, v83
	v_add_f32_e32 v8, v6, v4
	v_sub_f32_e32 v4, v6, v4
	ds_write2_b32 v15, v64, v65 offset1:36
	ds_write2_b32 v16, v59, v4 offset0:72 offset1:108
	v_sub_f32_e32 v4, v12, v7
	ds_write2_b32 v16, v4, v5 offset0:144 offset1:180
	v_add_f32_e32 v5, v72, v76
	v_add_f32_e32 v4, v48, v72
	v_sub_f32_e32 v23, v9, v94
	v_fma_f32 v5, -0.5, v5, v48
	v_mul_f32_e32 v21, -0.5, v21
	v_add_f32_e32 v4, v4, v76
	v_add_f32_e32 v24, v71, v60
	v_mul_f32_e32 v55, 0.5, v74
	v_mov_b32_e32 v48, v5
	v_fmac_f32_e32 v5, 0xbf5db3d7, v23
	v_fmac_f32_e32 v21, 0x3f5db3d7, v18
	v_add_f32_e32 v11, v12, v7
	v_fmac_f32_e32 v55, 0x3f5db3d7, v73
	v_fmac_f32_e32 v48, 0x3f5db3d7, v23
	v_add_f32_e32 v74, v4, v24
	v_sub_f32_e32 v4, v4, v24
	v_add_f32_e32 v18, v5, v21
	ds_write2_b32 v16, v8, v11 offset1:36
	s_waitcnt lgkmcnt(0)
	s_barrier
	v_lshl_add_u32 v14, v0, 2, 0
	ds_read_b32 v12, v1 offset:2304
	ds_read_b32 v11, v14 offset:2880
	ds_read2_b32 v[8:9], v1 offset1:144
	ds_read2_b32 v[56:57], v39 offset0:96 offset1:240
	ds_read2_b32 v[58:59], v38 offset0:64 offset1:208
	;; [unrolled: 1-line block ×4, first 2 shown]
	ds_read2_b32 v[62:63], v41 offset1:144
	ds_read2_b32 v[64:65], v44 offset0:96 offset1:240
	ds_read2_b32 v[66:67], v42 offset0:64 offset1:208
	;; [unrolled: 1-line block ×3, first 2 shown]
	ds_read2_b32 v[70:71], v45 offset1:144
	ds_read2_b32 v[72:73], v47 offset0:96 offset1:240
	s_waitcnt lgkmcnt(0)
	s_barrier
	ds_write2_b32 v84, v18, v4 offset0:72 offset1:108
	v_sub_f32_e32 v4, v48, v55
	v_sub_f32_e32 v5, v5, v21
	ds_write2_b32 v84, v4, v5 offset0:144 offset1:180
	v_add_f32_e32 v5, v28, v27
	v_add_f32_e32 v4, v49, v28
	v_fmac_f32_e32 v49, -0.5, v5
	v_mul_f32_e32 v18, -0.5, v25
	v_sub_f32_e32 v5, v26, v34
	v_fmac_f32_e32 v18, 0x3f5db3d7, v20
	v_mov_b32_e32 v20, v49
	v_add_f32_e32 v28, v33, v35
	v_add_f32_e32 v4, v4, v27
	v_mul_f32_e32 v27, 0.5, v82
	v_fmac_f32_e32 v49, 0xbf5db3d7, v5
	v_mul_f32_e32 v25, -0.5, v37
	v_add_f32_e32 v26, v50, v33
	v_fma_f32 v28, -0.5, v28, v50
	v_fmac_f32_e32 v20, 0x3f5db3d7, v5
	v_add_f32_e32 v5, v80, v77
	v_fmac_f32_e32 v27, 0x3f5db3d7, v81
	v_add_f32_e32 v24, v54, v29
	;; [unrolled: 2-line block ×3, first 2 shown]
	v_add_f32_e32 v37, v20, v27
	v_sub_f32_e32 v4, v4, v5
	v_sub_f32_e32 v5, v20, v27
	v_add_f32_e32 v20, v26, v35
	v_sub_f32_e32 v22, v22, v32
	v_mov_b32_e32 v26, v28
	v_mul_f32_e32 v27, 0.5, v88
	v_mul_f32_e32 v19, -0.5, v19
	v_add_f32_e32 v23, v51, v54
	v_fmac_f32_e32 v51, -0.5, v24
	v_fmac_f32_e32 v26, 0x3f5db3d7, v22
	v_fmac_f32_e32 v28, 0xbf5db3d7, v22
	v_add_f32_e32 v22, v86, v78
	v_fmac_f32_e32 v27, 0x3f5db3d7, v87
	v_fmac_f32_e32 v19, 0x3f5db3d7, v17
	v_sub_f32_e32 v24, v53, v75
	v_mov_b32_e32 v33, v51
	v_add_f32_e32 v17, v20, v22
	v_sub_f32_e32 v20, v20, v22
	v_add_f32_e32 v22, v26, v27
	v_sub_f32_e32 v26, v26, v27
	;; [unrolled: 2-line block ×3, first 2 shown]
	v_mul_f32_e32 v28, 0.5, v85
	v_add_f32_e32 v76, v48, v55
	v_add_f32_e32 v21, v49, v18
	v_fmac_f32_e32 v51, 0xbf5db3d7, v24
	v_add_f32_e32 v23, v23, v29
	v_fmac_f32_e32 v33, 0x3f5db3d7, v24
	;; [unrolled: 2-line block ×3, first 2 shown]
	ds_write2_b32 v84, v74, v76 offset1:36
	v_sub_f32_e32 v18, v49, v18
	v_add_f32_e32 v34, v51, v25
	v_sub_f32_e32 v25, v51, v25
	ds_write2_b32 v13, v36, v37 offset1:36
	v_add_f32_e32 v29, v23, v24
	v_sub_f32_e32 v23, v23, v24
	v_add_f32_e32 v24, v33, v28
	v_sub_f32_e32 v28, v33, v28
	ds_write2_b32 v13, v21, v4 offset0:72 offset1:108
	ds_write2_b32 v13, v5, v18 offset0:144 offset1:180
	ds_write2_b32 v15, v17, v22 offset1:36
	ds_write2_b32 v15, v27, v20 offset0:72 offset1:108
	ds_write2_b32 v15, v26, v19 offset0:144 offset1:180
	ds_write2_b32 v16, v29, v24 offset1:36
	ds_write2_b32 v16, v34, v23 offset0:72 offset1:108
	ds_write2_b32 v16, v28, v25 offset0:144 offset1:180
	v_mul_u32_u24_e32 v4, 3, v0
	v_lshlrev_b32_e32 v15, 3, v4
	v_add_u32_e32 v4, 0xffffffb8, v0
	v_cndmask_b32_e32 v10, v4, v10, vcc
	v_mov_b32_e32 v5, 0
	v_mul_i32_i24_e32 v4, 3, v10
	v_lshlrev_b64 v[20:21], 3, v[4:5]
	s_waitcnt lgkmcnt(0)
	s_barrier
	global_load_dwordx4 v[16:19], v15, s[8:9] offset:1680
	v_mov_b32_e32 v4, s9
	v_add_co_u32_e32 v28, vcc, s8, v20
	v_addc_co_u32_e32 v29, vcc, v4, v21, vcc
	global_load_dwordx4 v[20:23], v[28:29], off offset:1680
	global_load_dwordx4 v[24:27], v15, s[8:9] offset:3408
	v_lshrrev_b16_e32 v4, 3, v31
	v_mul_u32_u24_e32 v4, 0x12f7, v4
	v_lshrrev_b32_e32 v4, 17, v4
	v_mul_lo_u16_e32 v4, 0xd8, v4
	v_sub_u16_e32 v4, v31, v4
	v_add_u32_e32 v32, 0x240, v0
	v_mul_u32_u24_e32 v13, 3, v4
	v_lshrrev_b16_e32 v33, 3, v32
	v_lshlrev_b32_e32 v13, 3, v13
	v_mul_u32_u24_e32 v33, 0x12f7, v33
	global_load_dwordx4 v[34:37], v13, s[8:9] offset:1680
	v_lshrrev_b32_e32 v88, 17, v33
	v_mul_lo_u16_e32 v33, 0xd8, v88
	v_sub_u16_e32 v89, v32, v33
	v_mul_u32_u24_e32 v33, 3, v89
	v_lshlrev_b32_e32 v84, 3, v33
	global_load_dwordx4 v[48:51], v84, s[8:9] offset:1680
	v_add_u32_e32 v33, 0x2d0, v0
	v_lshrrev_b16_e32 v52, 3, v33
	v_mul_u32_u24_e32 v52, 0x12f7, v52
	v_lshrrev_b32_e32 v52, 17, v52
	v_mul_lo_u16_e32 v52, 0xd8, v52
	v_sub_u16_e32 v90, v33, v52
	v_mul_u32_u24_e32 v52, 3, v90
	v_lshlrev_b32_e32 v85, 3, v52
	global_load_dwordx4 v[52:55], v85, s[8:9] offset:1680
	global_load_dwordx2 v[74:75], v15, s[8:9] offset:1696
	global_load_dwordx2 v[76:77], v[28:29], off offset:1696
	global_load_dwordx2 v[78:79], v15, s[8:9] offset:3424
	global_load_dwordx2 v[80:81], v13, s[8:9] offset:1696
	;; [unrolled: 1-line block ×3, first 2 shown]
	ds_read2_b32 v[28:29], v39 offset0:96 offset1:240
	global_load_dwordx2 v[84:85], v85, s[8:9] offset:1696
	ds_read2_b32 v[86:87], v38 offset0:64 offset1:208
	v_cmp_lt_u32_e32 vcc, s4, v0
	v_lshlrev_b32_e32 v10, 2, v10
	v_lshl_add_u32 v4, v4, 2, 0
	s_movk_i32 s4, 0x3000
	s_waitcnt vmcnt(11) lgkmcnt(1)
	v_mul_f32_e32 v13, v28, v17
	v_mul_f32_e32 v17, v56, v17
	v_fmac_f32_e32 v13, v56, v16
	v_fma_f32 v28, v28, v16, -v17
	s_waitcnt lgkmcnt(0)
	v_mul_f32_e32 v56, v86, v19
	v_mul_f32_e32 v16, v58, v19
	v_fmac_f32_e32 v56, v58, v18
	v_fma_f32 v58, v86, v18, -v16
	s_waitcnt vmcnt(10)
	v_mul_f32_e32 v86, v29, v21
	v_mul_f32_e32 v16, v57, v21
	v_fmac_f32_e32 v86, v57, v20
	v_fma_f32 v57, v29, v20, -v16
	v_mul_f32_e32 v20, v87, v23
	ds_read2_b32 v[16:17], v41 offset1:144
	v_mul_f32_e32 v18, v59, v23
	v_fmac_f32_e32 v20, v59, v22
	v_fma_f32 v59, v87, v22, -v18
	ds_read2_b32 v[18:19], v44 offset0:96 offset1:240
	s_waitcnt vmcnt(9) lgkmcnt(1)
	v_mul_f32_e32 v21, v16, v25
	v_mul_f32_e32 v22, v62, v25
	v_fmac_f32_e32 v21, v62, v24
	v_fma_f32 v62, v16, v24, -v22
	s_waitcnt lgkmcnt(0)
	v_mul_f32_e32 v22, v18, v27
	v_mul_f32_e32 v16, v64, v27
	v_fmac_f32_e32 v22, v64, v26
	v_fma_f32 v64, v18, v26, -v16
	s_waitcnt vmcnt(8)
	v_mul_f32_e32 v23, v17, v35
	v_mul_f32_e32 v16, v63, v35
	;; [unrolled: 1-line block ×3, first 2 shown]
	v_fmac_f32_e32 v23, v63, v34
	v_fma_f32 v63, v17, v34, -v16
	v_mul_f32_e32 v24, v19, v37
	ds_read2_b32 v[16:17], v46 offset0:32 offset1:176
	v_fma_f32 v37, v19, v36, -v18
	ds_read2_b32 v[18:19], v45 offset1:144
	s_waitcnt vmcnt(7)
	v_mul_f32_e32 v26, v68, v49
	v_fmac_f32_e32 v24, v65, v36
	s_waitcnt lgkmcnt(1)
	v_mul_f32_e32 v25, v16, v49
	v_fma_f32 v65, v16, v48, -v26
	s_waitcnt lgkmcnt(0)
	v_mul_f32_e32 v26, v18, v51
	v_mul_f32_e32 v16, v70, v51
	v_fmac_f32_e32 v26, v70, v50
	v_fma_f32 v50, v18, v50, -v16
	s_waitcnt vmcnt(6)
	v_mul_f32_e32 v16, v69, v53
	v_mul_f32_e32 v27, v17, v53
	v_fma_f32 v51, v17, v52, -v16
	ds_read2_b32 v[16:17], v40 offset0:32 offset1:176
	v_mul_f32_e32 v18, v71, v55
	v_fmac_f32_e32 v27, v69, v52
	v_fma_f32 v52, v19, v54, -v18
	s_waitcnt vmcnt(5)
	v_mul_f32_e32 v18, v60, v75
	v_mul_f32_e32 v29, v19, v55
	s_waitcnt lgkmcnt(0)
	v_fma_f32 v35, v16, v74, -v18
	ds_read2_b32 v[18:19], v42 offset0:64 offset1:208
	v_mul_f32_e32 v34, v16, v75
	s_waitcnt vmcnt(4)
	v_mul_f32_e32 v16, v61, v77
	v_fmac_f32_e32 v29, v71, v54
	v_fma_f32 v54, v17, v76, -v16
	s_waitcnt vmcnt(3)
	v_mul_f32_e32 v16, v66, v79
	v_mul_f32_e32 v53, v17, v77
	s_waitcnt lgkmcnt(0)
	v_mul_f32_e32 v55, v18, v79
	v_fma_f32 v18, v18, v78, -v16
	ds_read2_b32 v[16:17], v47 offset0:96 offset1:240
	s_waitcnt vmcnt(2)
	v_mul_f32_e32 v36, v67, v81
	v_fmac_f32_e32 v34, v60, v74
	v_mul_f32_e32 v60, v19, v81
	v_fma_f32 v19, v19, v80, -v36
	s_waitcnt vmcnt(1)
	v_mul_f32_e32 v36, v72, v83
	v_fmac_f32_e32 v53, v61, v76
	s_waitcnt lgkmcnt(0)
	v_mul_f32_e32 v61, v16, v83
	v_fma_f32 v16, v16, v82, -v36
	s_waitcnt vmcnt(0)
	v_mul_f32_e32 v36, v73, v85
	v_fmac_f32_e32 v55, v66, v78
	v_mul_f32_e32 v66, v17, v85
	v_fma_f32 v17, v17, v84, -v36
	v_sub_f32_e32 v36, v8, v56
	v_sub_f32_e32 v34, v13, v34
	;; [unrolled: 1-line block ×3, first 2 shown]
	v_fma_f32 v13, v13, 2.0, -v34
	v_fma_f32 v8, v8, 2.0, -v36
	v_fmac_f32_e32 v60, v67, v80
	v_sub_f32_e32 v13, v8, v13
	v_add_f32_e32 v67, v36, v56
	v_fmac_f32_e32 v25, v68, v48
	v_fma_f32 v8, v8, 2.0, -v13
	v_fma_f32 v68, v36, 2.0, -v67
	ds_read_b32 v69, v1 offset:2304
	ds_read_b32 v70, v14 offset:2880
	ds_read2_b32 v[35:36], v1 offset1:144
	ds_read2_b32 v[48:49], v43 offset0:32 offset1:176
	s_waitcnt lgkmcnt(0)
	s_barrier
	ds_write2_b32 v1, v8, v68 offset1:216
	v_add_u32_e32 v68, 0x680, v1
	ds_write2_b32 v68, v13, v67 offset0:16 offset1:232
	v_mov_b32_e32 v13, 0xd80
	v_sub_f32_e32 v8, v9, v20
	v_cndmask_b32_e32 v13, 0, v13, vcc
	v_sub_f32_e32 v53, v86, v53
	v_fma_f32 v9, v9, 2.0, -v8
	v_add3_u32 v67, 0, v13, v10
	v_sub_f32_e32 v54, v57, v54
	v_fma_f32 v10, v86, 2.0, -v53
	v_sub_f32_e32 v10, v9, v10
	v_add_f32_e32 v13, v8, v54
	v_fma_f32 v9, v9, 2.0, -v10
	v_fma_f32 v8, v8, 2.0, -v13
	ds_write2_b32 v67, v9, v8 offset1:216
	v_sub_f32_e32 v8, v6, v22
	v_sub_f32_e32 v55, v21, v55
	v_fmac_f32_e32 v61, v72, v82
	v_add_u32_e32 v71, 0x680, v67
	v_sub_f32_e32 v72, v62, v18
	v_fma_f32 v9, v21, 2.0, -v55
	v_fma_f32 v6, v6, 2.0, -v8
	ds_write2_b32 v71, v10, v13 offset0:16 offset1:232
	v_sub_f32_e32 v9, v6, v9
	v_add_f32_e32 v10, v8, v72
	v_fmac_f32_e32 v66, v73, v84
	v_fma_f32 v6, v6, 2.0, -v9
	v_fma_f32 v8, v8, 2.0, -v10
	v_add_u32_e32 v73, 0xe80, v14
	ds_write2_b32 v73, v6, v8 offset0:8 offset1:224
	v_sub_f32_e32 v6, v7, v24
	v_sub_f32_e32 v60, v23, v60
	v_add_u32_e32 v74, 0x1500, v14
	v_fma_f32 v7, v7, 2.0, -v6
	v_sub_f32_e32 v75, v63, v19
	v_fma_f32 v8, v23, 2.0, -v60
	ds_write2_b32 v74, v9, v10 offset0:24 offset1:240
	v_sub_f32_e32 v8, v7, v8
	v_add_f32_e32 v9, v6, v75
	v_fma_f32 v7, v7, 2.0, -v8
	v_fma_f32 v6, v6, 2.0, -v9
	v_add_u32_e32 v76, 0x1b00, v4
	ds_write2_b32 v76, v7, v6 offset1:216
	v_mul_u32_u24_e32 v6, 0xd80, v88
	v_lshlrev_b32_e32 v7, 2, v89
	v_add_u32_e32 v4, 0x2180, v4
	v_add3_u32 v77, 0, v6, v7
	v_sub_f32_e32 v6, v12, v26
	v_sub_f32_e32 v61, v25, v61
	ds_write2_b32 v4, v8, v9 offset0:16 offset1:232
	v_fma_f32 v7, v12, 2.0, -v6
	v_sub_f32_e32 v78, v65, v16
	v_fma_f32 v8, v25, 2.0, -v61
	v_sub_f32_e32 v8, v7, v8
	v_add_f32_e32 v9, v6, v78
	v_fma_f32 v7, v7, 2.0, -v8
	v_fma_f32 v6, v6, 2.0, -v9
	ds_write2_b32 v77, v7, v6 offset1:216
	v_add_u32_e32 v79, 0x680, v77
	v_sub_f32_e32 v6, v11, v29
	v_sub_f32_e32 v66, v27, v66
	ds_write2_b32 v79, v8, v9 offset0:16 offset1:232
	v_fma_f32 v7, v11, 2.0, -v6
	v_sub_f32_e32 v80, v51, v17
	v_fma_f32 v8, v27, 2.0, -v66
	v_sub_f32_e32 v8, v7, v8
	v_add_f32_e32 v9, v6, v80
	v_lshl_add_u32 v10, v90, 2, 0
	v_fma_f32 v7, v7, 2.0, -v8
	v_fma_f32 v6, v6, 2.0, -v9
	v_add_u32_e32 v81, 0x2800, v10
	ds_write2_b32 v81, v7, v6 offset0:32 offset1:248
	v_fma_f32 v6, v28, 2.0, -v56
	v_sub_f32_e32 v56, v35, v58
	v_add_u32_e32 v82, 0x2f00, v10
	v_fma_f32 v58, v35, 2.0, -v56
	ds_write2_b32 v82, v8, v9 offset0:16 offset1:232
	v_sub_f32_e32 v83, v58, v6
	v_sub_f32_e32 v84, v56, v34
	s_waitcnt lgkmcnt(0)
	s_barrier
	ds_read_b32 v34, v1 offset:2304
	ds_read_b32 v35, v14 offset:2880
	ds_read2_b32 v[6:7], v1 offset1:144
	ds_read2_b32 v[8:9], v39 offset0:96 offset1:240
	ds_read2_b32 v[12:13], v38 offset0:64 offset1:208
	;; [unrolled: 1-line block ×4, first 2 shown]
	ds_read2_b32 v[18:19], v41 offset1:144
	ds_read2_b32 v[22:23], v44 offset0:96 offset1:240
	ds_read2_b32 v[20:21], v42 offset0:64 offset1:208
	;; [unrolled: 1-line block ×3, first 2 shown]
	ds_read2_b32 v[28:29], v45 offset1:144
	ds_read2_b32 v[26:27], v47 offset0:96 offset1:240
	v_fma_f32 v58, v58, 2.0, -v83
	v_fma_f32 v56, v56, 2.0, -v84
	s_waitcnt lgkmcnt(0)
	s_barrier
	ds_write2_b32 v1, v58, v56 offset1:216
	v_sub_f32_e32 v56, v36, v59
	v_fma_f32 v36, v36, 2.0, -v56
	v_fma_f32 v54, v57, 2.0, -v54
	v_sub_f32_e32 v54, v36, v54
	v_sub_f32_e32 v53, v56, v53
	v_fma_f32 v36, v36, 2.0, -v54
	v_fma_f32 v56, v56, 2.0, -v53
	ds_write2_b32 v68, v83, v84 offset0:16 offset1:232
	ds_write2_b32 v67, v36, v56 offset1:216
	ds_write2_b32 v71, v54, v53 offset0:16 offset1:232
	v_sub_f32_e32 v53, v48, v64
	v_fma_f32 v36, v62, 2.0, -v72
	v_fma_f32 v48, v48, 2.0, -v53
	v_sub_f32_e32 v36, v48, v36
	v_sub_f32_e32 v54, v53, v55
	v_fma_f32 v48, v48, 2.0, -v36
	v_fma_f32 v53, v53, 2.0, -v54
	ds_write2_b32 v73, v48, v53 offset0:8 offset1:224
	ds_write2_b32 v74, v36, v54 offset0:24 offset1:240
	v_sub_f32_e32 v36, v49, v37
	v_fma_f32 v37, v49, 2.0, -v36
	v_fma_f32 v48, v63, 2.0, -v75
	v_sub_f32_e32 v48, v37, v48
	v_sub_f32_e32 v49, v36, v60
	v_fma_f32 v37, v37, 2.0, -v48
	v_fma_f32 v36, v36, 2.0, -v49
	v_sub_f32_e32 v50, v69, v50
	v_sub_f32_e32 v52, v70, v52
	ds_write2_b32 v76, v37, v36 offset1:216
	v_fma_f32 v36, v65, 2.0, -v78
	v_fma_f32 v37, v51, 2.0, -v80
	;; [unrolled: 1-line block ×4, first 2 shown]
	v_sub_f32_e32 v36, v51, v36
	v_sub_f32_e32 v53, v50, v61
	;; [unrolled: 1-line block ×4, first 2 shown]
	v_fma_f32 v51, v51, 2.0, -v36
	v_fma_f32 v50, v50, 2.0, -v53
	;; [unrolled: 1-line block ×4, first 2 shown]
	ds_write2_b32 v4, v48, v49 offset0:16 offset1:232
	ds_write2_b32 v77, v51, v50 offset1:216
	ds_write2_b32 v79, v36, v53 offset0:16 offset1:232
	ds_write2_b32 v81, v54, v52 offset0:32 offset1:248
	;; [unrolled: 1-line block ×3, first 2 shown]
	s_waitcnt lgkmcnt(0)
	s_barrier
	s_and_saveexec_b64 s[6:7], s[0:1]
	s_cbranch_execz .LBB0_13
; %bb.12:
	v_mul_u32_u24_e32 v4, 3, v33
	v_lshlrev_b32_e32 v4, 3, v4
	v_mov_b32_e32 v74, s9
	v_add_co_u32_e32 v4, vcc, s8, v4
	v_addc_co_u32_e32 v37, vcc, 0, v74, vcc
	v_add_co_u32_e32 v36, vcc, 0x1ad0, v4
	s_mov_b64 s[0:1], vcc
	v_add_co_u32_e32 v48, vcc, 0x1000, v4
	v_mov_b32_e32 v4, 0xfffffe50
	v_mad_u32_u24 v4, v33, 3, v4
	v_lshlrev_b64 v[52:53], 3, v[4:5]
	v_addc_co_u32_e32 v49, vcc, 0, v37, vcc
	v_addc_co_u32_e64 v37, vcc, 0, v37, s[0:1]
	global_load_dwordx4 v[48:51], v[48:49], off offset:2768
	v_add_co_u32_e32 v4, vcc, s8, v52
	global_load_dwordx2 v[36:37], v[36:37], off offset:16
	s_movk_i32 s0, 0x1000
	v_addc_co_u32_e32 v57, vcc, v74, v53, vcc
	v_add_co_u32_e32 v52, vcc, s0, v4
	s_movk_i32 s1, 0x1ad0
	v_addc_co_u32_e32 v53, vcc, 0, v57, vcc
	global_load_dwordx4 v[52:55], v[52:53], off offset:2768
	v_add_co_u32_e32 v56, vcc, s1, v4
	v_addc_co_u32_e32 v57, vcc, 0, v57, vcc
	global_load_dwordx2 v[60:61], v[56:57], off offset:16
	v_mov_b32_e32 v4, 0xfffffca0
	v_mad_u32_u24 v4, v33, 3, v4
	ds_read2_b32 v[62:63], v45 offset1:144
	ds_read2_b32 v[64:65], v46 offset0:32 offset1:176
	ds_read2_b32 v[66:67], v47 offset0:96 offset1:240
	ds_read_b32 v47, v14 offset:2880
	ds_read_b32 v75, v1 offset:2304
	v_add_co_u32_e32 v77, vcc, s8, v15
	v_lshlrev_b64 v[14:15], 3, v[4:5]
	v_addc_co_u32_e32 v79, vcc, 0, v74, vcc
	v_add_co_u32_e32 v4, vcc, s8, v14
	v_addc_co_u32_e32 v46, vcc, v74, v15, vcc
	v_add_co_u32_e32 v14, vcc, s1, v4
	;; [unrolled: 2-line block ×3, first 2 shown]
	v_addc_co_u32_e32 v46, vcc, 0, v46, vcc
	global_load_dwordx4 v[56:59], v[45:46], off offset:2768
	global_load_dwordx2 v[68:69], v[14:15], off offset:16
	s_movk_i32 s5, 0x2000
	s_waitcnt vmcnt(5)
	v_mul_f32_e32 v4, v29, v51
	s_waitcnt lgkmcnt(3)
	v_mul_f32_e32 v45, v49, v65
	v_mul_f32_e32 v15, v63, v51
	s_waitcnt vmcnt(4) lgkmcnt(2)
	v_mul_f32_e32 v14, v37, v67
	v_fma_f32 v4, v50, v63, -v4
	v_fmac_f32_e32 v45, v25, v48
	v_fmac_f32_e32 v14, v27, v36
	v_mul_f32_e32 v46, v25, v49
	v_mul_f32_e32 v37, v27, v37
	v_fmac_f32_e32 v15, v29, v50
	s_waitcnt lgkmcnt(1)
	v_sub_f32_e32 v4, v47, v4
	v_sub_f32_e32 v29, v45, v14
	v_fma_f32 v25, v48, v65, -v46
	v_fma_f32 v27, v36, v67, -v37
	v_sub_f32_e32 v36, v35, v15
	v_sub_f32_e32 v15, v4, v29
	;; [unrolled: 1-line block ×3, first 2 shown]
	v_fma_f32 v37, v47, 2.0, -v4
	v_fma_f32 v50, v4, 2.0, -v15
	s_waitcnt vmcnt(3)
	v_mul_f32_e32 v4, v28, v55
	v_fma_f32 v25, v25, 2.0, -v27
	v_fma_f32 v4, v54, v62, -v4
	v_add_f32_e32 v14, v36, v27
	v_fma_f32 v27, v35, 2.0, -v36
	v_sub_f32_e32 v71, v37, v25
	s_waitcnt lgkmcnt(0)
	v_sub_f32_e32 v25, v75, v4
	v_mul_f32_e32 v35, v53, v64
	s_waitcnt vmcnt(2)
	v_mul_f32_e32 v4, v61, v66
	v_fmac_f32_e32 v35, v24, v52
	v_fmac_f32_e32 v4, v26, v60
	v_fma_f32 v49, v36, 2.0, -v14
	v_sub_f32_e32 v36, v35, v4
	v_mul_f32_e32 v4, v62, v55
	v_fmac_f32_e32 v4, v28, v54
	v_fma_f32 v29, v45, 2.0, -v29
	v_fma_f32 v73, v37, 2.0, -v71
	v_sub_f32_e32 v37, v34, v4
	v_mov_b32_e32 v4, 0xfffffaf0
	v_sub_f32_e32 v70, v27, v29
	v_mad_u32_u24 v4, v33, 3, v4
	v_fma_f32 v72, v27, 2.0, -v70
	v_lshlrev_b64 v[27:28], 3, v[4:5]
	v_sub_f32_e32 v29, v25, v36
	v_add_co_u32_e32 v4, vcc, s8, v27
	v_addc_co_u32_e32 v51, vcc, v74, v28, vcc
	v_add_co_u32_e32 v27, vcc, s0, v4
	v_addc_co_u32_e32 v28, vcc, 0, v51, vcc
	global_load_dwordx4 v[45:48], v[27:28], off offset:2768
	v_add_co_u32_e32 v27, vcc, s1, v4
	v_mul_f32_e32 v4, v24, v53
	v_mul_f32_e32 v24, v26, v61
	v_fma_f32 v4, v52, v64, -v4
	v_fma_f32 v24, v60, v66, -v24
	v_sub_f32_e32 v24, v4, v24
	v_fma_f32 v63, v25, 2.0, -v29
	v_fma_f32 v25, v75, 2.0, -v25
	;; [unrolled: 1-line block ×3, first 2 shown]
	v_sub_f32_e32 v52, v25, v4
	v_fma_f32 v34, v34, 2.0, -v37
	v_fma_f32 v4, v35, 2.0, -v36
	v_addc_co_u32_e32 v28, vcc, 0, v51, vcc
	v_sub_f32_e32 v51, v34, v4
	v_mov_b32_e32 v4, 0xfffff940
	v_mad_u32_u24 v4, v33, 3, v4
	global_load_dwordx2 v[54:55], v[27:28], off offset:16
	v_add_f32_e32 v28, v37, v24
	v_fma_f32 v61, v25, 2.0, -v52
	v_lshlrev_b64 v[24:25], 3, v[4:5]
	v_fma_f32 v60, v34, 2.0, -v51
	v_add_co_u32_e32 v4, vcc, s8, v24
	v_addc_co_u32_e32 v35, vcc, v74, v25, vcc
	v_add_co_u32_e32 v24, vcc, s0, v4
	v_addc_co_u32_e32 v25, vcc, 0, v35, vcc
	;; [unrolled: 2-line block ×3, first 2 shown]
	global_load_dwordx4 v[24:27], v[24:25], off offset:2768
	s_waitcnt vmcnt(4)
	v_mul_f32_e32 v4, v23, v59
	global_load_dwordx2 v[64:65], v[34:35], off offset:16
	ds_read2_b32 v[66:67], v44 offset0:96 offset1:240
	ds_read2_b32 v[43:44], v43 offset0:32 offset1:176
	ds_read2_b32 v[74:75], v41 offset1:144
	ds_read2_b32 v[41:42], v42 offset0:64 offset1:208
	v_fma_f32 v62, v37, 2.0, -v28
	s_waitcnt lgkmcnt(3)
	v_fma_f32 v4, v58, v67, -v4
	s_waitcnt lgkmcnt(2)
	v_sub_f32_e32 v4, v44, v4
	s_waitcnt lgkmcnt(1)
	v_mul_f32_e32 v53, v57, v75
	s_waitcnt vmcnt(4) lgkmcnt(0)
	v_mul_f32_e32 v34, v69, v42
	v_fmac_f32_e32 v53, v19, v56
	v_fmac_f32_e32 v34, v21, v68
	v_sub_f32_e32 v81, v53, v34
	v_mul_f32_e32 v34, v67, v59
	v_fmac_f32_e32 v34, v23, v58
	v_sub_f32_e32 v23, v17, v34
	v_add_co_u32_e32 v34, vcc, s0, v77
	v_addc_co_u32_e32 v35, vcc, 0, v79, vcc
	v_mul_f32_e32 v19, v19, v57
	v_add_co_u32_e32 v57, vcc, s1, v77
	v_addc_co_u32_e32 v58, vcc, 0, v79, vcc
	global_load_dwordx4 v[34:37], v[34:35], off offset:2768
	v_mul_f32_e32 v21, v21, v69
	global_load_dwordx2 v[57:58], v[57:58], off offset:16
	v_fma_f32 v19, v56, v75, -v19
	v_fma_f32 v21, v68, v42, -v21
	v_sub_f32_e32 v76, v4, v81
	v_sub_f32_e32 v21, v19, v21
	v_fma_f32 v78, v4, 2.0, -v76
	v_fma_f32 v4, v44, 2.0, -v4
	;; [unrolled: 1-line block ×3, first 2 shown]
	v_sub_f32_e32 v68, v4, v19
	v_fma_f32 v80, v4, 2.0, -v68
	v_fma_f32 v4, v17, 2.0, -v23
	;; [unrolled: 1-line block ×3, first 2 shown]
	v_sub_f32_e32 v67, v4, v17
	v_fma_f32 v79, v4, 2.0, -v67
	v_add_f32_e32 v75, v23, v21
	v_fma_f32 v77, v23, 2.0, -v75
	s_movk_i32 s1, 0x5000
	s_waitcnt vmcnt(5)
	v_mul_f32_e32 v42, v46, v74
	v_fmac_f32_e32 v42, v18, v45
	v_mul_f32_e32 v4, v22, v48
	v_fma_f32 v4, v47, v66, -v4
	v_sub_f32_e32 v4, v43, v4
	s_waitcnt vmcnt(4)
	v_mul_f32_e32 v17, v55, v41
	v_fmac_f32_e32 v17, v20, v54
	v_sub_f32_e32 v44, v42, v17
	v_mul_f32_e32 v17, v66, v48
	v_fmac_f32_e32 v17, v22, v47
	v_sub_f32_e32 v22, v16, v17
	v_mul_f32_e32 v17, v18, v46
	v_mul_f32_e32 v18, v20, v55
	v_fma_f32 v17, v45, v74, -v17
	v_fma_f32 v18, v54, v41, -v18
	v_sub_f32_e32 v19, v4, v44
	v_sub_f32_e32 v23, v17, v18
	v_fma_f32 v21, v4, 2.0, -v19
	v_fma_f32 v4, v43, 2.0, -v4
	;; [unrolled: 1-line block ×3, first 2 shown]
	v_sub_f32_e32 v17, v4, v17
	v_add_f32_e32 v18, v22, v23
	v_fma_f32 v23, v4, 2.0, -v17
	v_fma_f32 v4, v16, 2.0, -v22
	;; [unrolled: 1-line block ×3, first 2 shown]
	ds_read2_b32 v[41:42], v38 offset0:64 offset1:208
	ds_read2_b32 v[43:44], v1 offset1:144
	ds_read2_b32 v[38:39], v39 offset0:96 offset1:240
	ds_read2_b32 v[45:46], v40 offset0:32 offset1:176
	v_sub_f32_e32 v16, v4, v16
	v_fma_f32 v20, v22, 2.0, -v18
	v_fma_f32 v22, v4, 2.0, -v16
	s_waitcnt vmcnt(3)
	v_mul_f32_e32 v1, v13, v27
	s_waitcnt lgkmcnt(1)
	v_mul_f32_e32 v4, v25, v39
	s_waitcnt vmcnt(2) lgkmcnt(0)
	v_mul_f32_e32 v40, v65, v46
	v_fma_f32 v1, v26, v42, -v1
	v_fmac_f32_e32 v4, v9, v24
	v_fmac_f32_e32 v40, v11, v64
	v_mul_f32_e32 v9, v9, v25
	v_mul_f32_e32 v11, v11, v65
	v_sub_f32_e32 v1, v44, v1
	v_sub_f32_e32 v48, v4, v40
	v_fma_f32 v9, v24, v39, -v9
	v_fma_f32 v11, v64, v46, -v11
	v_sub_f32_e32 v40, v1, v48
	v_mul_f32_e32 v27, v42, v27
	v_sub_f32_e32 v11, v9, v11
	v_fma_f32 v47, v1, 2.0, -v40
	v_fmac_f32_e32 v27, v13, v26
	v_fma_f32 v1, v44, 2.0, -v1
	v_fma_f32 v9, v9, 2.0, -v11
	v_sub_f32_e32 v13, v7, v27
	v_sub_f32_e32 v25, v1, v9
	v_fma_f32 v27, v1, 2.0, -v25
	v_fma_f32 v1, v7, 2.0, -v13
	;; [unrolled: 1-line block ×3, first 2 shown]
	v_sub_f32_e32 v24, v1, v4
	s_waitcnt vmcnt(1)
	v_mul_f32_e32 v4, v35, v38
	s_waitcnt vmcnt(0)
	v_mul_f32_e32 v7, v58, v45
	v_fmac_f32_e32 v4, v8, v34
	v_fmac_f32_e32 v7, v10, v57
	v_sub_f32_e32 v42, v4, v7
	v_mul_f32_e32 v7, v41, v37
	v_fma_f32 v26, v1, 2.0, -v24
	v_mul_f32_e32 v1, v12, v37
	v_fmac_f32_e32 v7, v12, v36
	v_fma_f32 v1, v36, v41, -v1
	v_sub_f32_e32 v12, v6, v7
	v_mul_f32_e32 v7, v8, v35
	v_mul_f32_e32 v8, v10, v58
	v_add_f32_e32 v39, v13, v11
	v_sub_f32_e32 v1, v43, v1
	v_fma_f32 v7, v34, v38, -v7
	v_fma_f32 v8, v57, v45, -v8
	v_fma_f32 v46, v13, 2.0, -v39
	v_sub_f32_e32 v9, v1, v42
	v_sub_f32_e32 v13, v7, v8
	v_fma_f32 v11, v1, 2.0, -v9
	v_fma_f32 v1, v43, 2.0, -v1
	;; [unrolled: 1-line block ×3, first 2 shown]
	v_sub_f32_e32 v7, v1, v7
	v_add_f32_e32 v8, v12, v13
	v_fma_f32 v13, v1, 2.0, -v7
	v_fma_f32 v1, v6, 2.0, -v12
	v_fma_f32 v4, v4, 2.0, -v42
	v_sub_f32_e32 v6, v1, v4
	v_fma_f32 v10, v12, 2.0, -v8
	v_fma_f32 v12, v1, 2.0, -v6
	v_mov_b32_e32 v1, v5
	v_mov_b32_e32 v4, s3
	v_add_co_u32_e32 v34, vcc, s2, v2
	v_lshlrev_b64 v[0:1], 3, v[0:1]
	v_addc_co_u32_e32 v35, vcc, v4, v3, vcc
	v_add_co_u32_e32 v0, vcc, v34, v0
	v_addc_co_u32_e32 v1, vcc, v35, v1, vcc
	v_add_co_u32_e32 v2, vcc, s0, v0
	v_addc_co_u32_e32 v3, vcc, 0, v1, vcc
	global_store_dwordx2 v[2:3], v[10:11], off offset:2816
	v_add_co_u32_e32 v10, vcc, s4, v0
	v_addc_co_u32_e32 v11, vcc, 0, v1, vcc
	global_store_dwordx2 v[10:11], v[6:7], off offset:1536
	v_add_co_u32_e32 v6, vcc, s1, v0
	v_addc_co_u32_e32 v7, vcc, 0, v1, vcc
	global_store_dwordx2 v[0:1], v[12:13], off
	global_store_dwordx2 v[6:7], v[8:9], off offset:256
	global_store_dwordx2 v[0:1], v[26:27], off offset:1152
	;; [unrolled: 1-line block ×3, first 2 shown]
	v_lshrrev_b32_e32 v2, 5, v30
	s_mov_b32 s2, 0x97b425f
	v_mul_hi_u32 v2, v2, s2
	global_store_dwordx2 v[10:11], v[24:25], off offset:2688
	global_store_dwordx2 v[6:7], v[39:40], off offset:1408
	s_movk_i32 s3, 0xa20
	v_mul_u32_u24_e32 v4, 0xa20, v2
	v_lshlrev_b64 v[2:3], 3, v[4:5]
	v_lshrrev_b32_e32 v4, 5, v31
	v_add_co_u32_e32 v2, vcc, v0, v2
	v_addc_co_u32_e32 v3, vcc, v1, v3, vcc
	v_add_co_u32_e32 v6, vcc, s5, v2
	v_addc_co_u32_e32 v7, vcc, 0, v3, vcc
	v_mul_hi_u32 v4, v4, s2
	global_store_dwordx2 v[6:7], v[20:21], off offset:1024
	v_add_co_u32_e32 v6, vcc, s4, v2
	v_addc_co_u32_e32 v7, vcc, 0, v3, vcc
	global_store_dwordx2 v[2:3], v[22:23], off offset:2304
	v_add_co_u32_e32 v2, vcc, s1, v2
	v_addc_co_u32_e32 v3, vcc, 0, v3, vcc
	v_mul_u32_u24_e32 v4, 0xa20, v4
	global_store_dwordx2 v[2:3], v[18:19], off offset:2560
	v_lshlrev_b64 v[2:3], 3, v[4:5]
	global_store_dwordx2 v[6:7], v[16:17], off offset:3840
	v_add_co_u32_e32 v0, vcc, v0, v2
	v_addc_co_u32_e32 v1, vcc, v1, v3, vcc
	v_add_co_u32_e32 v2, vcc, s5, v0
	v_addc_co_u32_e32 v3, vcc, 0, v1, vcc
	s_movk_i32 s5, 0x4000
	global_store_dwordx2 v[2:3], v[77:78], off offset:2176
	v_add_co_u32_e32 v2, vcc, s5, v0
	v_addc_co_u32_e32 v3, vcc, 0, v1, vcc
	global_store_dwordx2 v[2:3], v[67:68], off offset:896
	v_lshrrev_b32_e32 v2, 5, v32
	v_mul_hi_u32 v2, v2, s2
	global_store_dwordx2 v[0:1], v[79:80], off offset:3456
	v_add_co_u32_e32 v0, vcc, s1, v0
	v_addc_co_u32_e32 v1, vcc, 0, v1, vcc
	v_mad_u32_u24 v4, v2, s3, v32
	global_store_dwordx2 v[0:1], v[75:76], off offset:3712
	v_lshlrev_b64 v[0:1], 3, v[4:5]
	v_add_co_u32_e32 v0, vcc, v34, v0
	v_addc_co_u32_e32 v1, vcc, v35, v1, vcc
	v_add_co_u32_e32 v2, vcc, s0, v0
	v_addc_co_u32_e32 v3, vcc, 0, v1, vcc
	global_store_dwordx2 v[2:3], v[62:63], off offset:2816
	v_add_co_u32_e32 v2, vcc, s4, v0
	v_addc_co_u32_e32 v3, vcc, 0, v1, vcc
	global_store_dwordx2 v[2:3], v[51:52], off offset:1536
	v_lshrrev_b32_e32 v2, 5, v33
	v_mul_hi_u32 v2, v2, s2
	global_store_dwordx2 v[0:1], v[60:61], off
	v_add_co_u32_e32 v0, vcc, s1, v0
	v_addc_co_u32_e32 v1, vcc, 0, v1, vcc
	v_mad_u32_u24 v4, v2, s3, v33
	global_store_dwordx2 v[0:1], v[28:29], off offset:256
	v_lshlrev_b64 v[0:1], 3, v[4:5]
	v_add_co_u32_e32 v0, vcc, v34, v0
	v_addc_co_u32_e32 v1, vcc, v35, v1, vcc
	v_add_co_u32_e32 v2, vcc, s0, v0
	v_addc_co_u32_e32 v3, vcc, 0, v1, vcc
	global_store_dwordx2 v[2:3], v[49:50], off offset:2816
	v_add_co_u32_e32 v2, vcc, 0x3000, v0
	v_addc_co_u32_e32 v3, vcc, 0, v1, vcc
	global_store_dwordx2 v[0:1], v[72:73], off
	v_add_co_u32_e32 v0, vcc, 0x5000, v0
	v_addc_co_u32_e32 v1, vcc, 0, v1, vcc
	global_store_dwordx2 v[2:3], v[70:71], off offset:1536
	global_store_dwordx2 v[0:1], v[14:15], off offset:256
.LBB0_13:
	s_endpgm
	.section	.rodata,"a",@progbits
	.p2align	6, 0x0
	.amdhsa_kernel fft_rtc_back_len3456_factors_6_6_6_4_4_wgs_144_tpt_144_halfLds_sp_ip_CI_unitstride_sbrr_dirReg
		.amdhsa_group_segment_fixed_size 0
		.amdhsa_private_segment_fixed_size 0
		.amdhsa_kernarg_size 88
		.amdhsa_user_sgpr_count 6
		.amdhsa_user_sgpr_private_segment_buffer 1
		.amdhsa_user_sgpr_dispatch_ptr 0
		.amdhsa_user_sgpr_queue_ptr 0
		.amdhsa_user_sgpr_kernarg_segment_ptr 1
		.amdhsa_user_sgpr_dispatch_id 0
		.amdhsa_user_sgpr_flat_scratch_init 0
		.amdhsa_user_sgpr_private_segment_size 0
		.amdhsa_uses_dynamic_stack 0
		.amdhsa_system_sgpr_private_segment_wavefront_offset 0
		.amdhsa_system_sgpr_workgroup_id_x 1
		.amdhsa_system_sgpr_workgroup_id_y 0
		.amdhsa_system_sgpr_workgroup_id_z 0
		.amdhsa_system_sgpr_workgroup_info 0
		.amdhsa_system_vgpr_workitem_id 0
		.amdhsa_next_free_vgpr 102
		.amdhsa_next_free_sgpr 22
		.amdhsa_reserve_vcc 1
		.amdhsa_reserve_flat_scratch 0
		.amdhsa_float_round_mode_32 0
		.amdhsa_float_round_mode_16_64 0
		.amdhsa_float_denorm_mode_32 3
		.amdhsa_float_denorm_mode_16_64 3
		.amdhsa_dx10_clamp 1
		.amdhsa_ieee_mode 1
		.amdhsa_fp16_overflow 0
		.amdhsa_exception_fp_ieee_invalid_op 0
		.amdhsa_exception_fp_denorm_src 0
		.amdhsa_exception_fp_ieee_div_zero 0
		.amdhsa_exception_fp_ieee_overflow 0
		.amdhsa_exception_fp_ieee_underflow 0
		.amdhsa_exception_fp_ieee_inexact 0
		.amdhsa_exception_int_div_zero 0
	.end_amdhsa_kernel
	.text
.Lfunc_end0:
	.size	fft_rtc_back_len3456_factors_6_6_6_4_4_wgs_144_tpt_144_halfLds_sp_ip_CI_unitstride_sbrr_dirReg, .Lfunc_end0-fft_rtc_back_len3456_factors_6_6_6_4_4_wgs_144_tpt_144_halfLds_sp_ip_CI_unitstride_sbrr_dirReg
                                        ; -- End function
	.section	.AMDGPU.csdata,"",@progbits
; Kernel info:
; codeLenInByte = 11308
; NumSgprs: 26
; NumVgprs: 102
; ScratchSize: 0
; MemoryBound: 0
; FloatMode: 240
; IeeeMode: 1
; LDSByteSize: 0 bytes/workgroup (compile time only)
; SGPRBlocks: 3
; VGPRBlocks: 25
; NumSGPRsForWavesPerEU: 26
; NumVGPRsForWavesPerEU: 102
; Occupancy: 2
; WaveLimiterHint : 1
; COMPUTE_PGM_RSRC2:SCRATCH_EN: 0
; COMPUTE_PGM_RSRC2:USER_SGPR: 6
; COMPUTE_PGM_RSRC2:TRAP_HANDLER: 0
; COMPUTE_PGM_RSRC2:TGID_X_EN: 1
; COMPUTE_PGM_RSRC2:TGID_Y_EN: 0
; COMPUTE_PGM_RSRC2:TGID_Z_EN: 0
; COMPUTE_PGM_RSRC2:TIDIG_COMP_CNT: 0
	.type	__hip_cuid_6c2d85a69207090c,@object ; @__hip_cuid_6c2d85a69207090c
	.section	.bss,"aw",@nobits
	.globl	__hip_cuid_6c2d85a69207090c
__hip_cuid_6c2d85a69207090c:
	.byte	0                               ; 0x0
	.size	__hip_cuid_6c2d85a69207090c, 1

	.ident	"AMD clang version 19.0.0git (https://github.com/RadeonOpenCompute/llvm-project roc-6.4.0 25133 c7fe45cf4b819c5991fe208aaa96edf142730f1d)"
	.section	".note.GNU-stack","",@progbits
	.addrsig
	.addrsig_sym __hip_cuid_6c2d85a69207090c
	.amdgpu_metadata
---
amdhsa.kernels:
  - .args:
      - .actual_access:  read_only
        .address_space:  global
        .offset:         0
        .size:           8
        .value_kind:     global_buffer
      - .offset:         8
        .size:           8
        .value_kind:     by_value
      - .actual_access:  read_only
        .address_space:  global
        .offset:         16
        .size:           8
        .value_kind:     global_buffer
      - .actual_access:  read_only
        .address_space:  global
        .offset:         24
        .size:           8
        .value_kind:     global_buffer
      - .offset:         32
        .size:           8
        .value_kind:     by_value
      - .actual_access:  read_only
        .address_space:  global
        .offset:         40
        .size:           8
        .value_kind:     global_buffer
      - .actual_access:  read_only
        .address_space:  global
        .offset:         48
        .size:           8
        .value_kind:     global_buffer
      - .offset:         56
        .size:           4
        .value_kind:     by_value
      - .actual_access:  read_only
        .address_space:  global
        .offset:         64
        .size:           8
        .value_kind:     global_buffer
      - .actual_access:  read_only
        .address_space:  global
        .offset:         72
        .size:           8
        .value_kind:     global_buffer
      - .address_space:  global
        .offset:         80
        .size:           8
        .value_kind:     global_buffer
    .group_segment_fixed_size: 0
    .kernarg_segment_align: 8
    .kernarg_segment_size: 88
    .language:       OpenCL C
    .language_version:
      - 2
      - 0
    .max_flat_workgroup_size: 144
    .name:           fft_rtc_back_len3456_factors_6_6_6_4_4_wgs_144_tpt_144_halfLds_sp_ip_CI_unitstride_sbrr_dirReg
    .private_segment_fixed_size: 0
    .sgpr_count:     26
    .sgpr_spill_count: 0
    .symbol:         fft_rtc_back_len3456_factors_6_6_6_4_4_wgs_144_tpt_144_halfLds_sp_ip_CI_unitstride_sbrr_dirReg.kd
    .uniform_work_group_size: 1
    .uses_dynamic_stack: false
    .vgpr_count:     102
    .vgpr_spill_count: 0
    .wavefront_size: 64
amdhsa.target:   amdgcn-amd-amdhsa--gfx906
amdhsa.version:
  - 1
  - 2
...

	.end_amdgpu_metadata
